;; amdgpu-corpus repo=zjin-lcf/HeCBench kind=compiled arch=gfx1100 opt=O3
	.text
	.amdgcn_target "amdgcn-amd-amdhsa--gfx1100"
	.amdhsa_code_object_version 6
	.p2align	2                               ; -- Begin function __ockl_fprintf_append_string_n
	.type	__ockl_fprintf_append_string_n,@function
__ockl_fprintf_append_string_n:         ; @__ockl_fprintf_append_string_n
; %bb.0:
	s_waitcnt vmcnt(0) expcnt(0) lgkmcnt(0)
	v_dual_mov_b32 v8, v3 :: v_dual_mov_b32 v7, v2
	v_or_b32_e32 v2, 2, v0
	v_cmp_eq_u32_e32 vcc_lo, 0, v6
	v_mbcnt_lo_u32_b32 v33, -1, 0
	s_mov_b32 s11, 0
	s_mov_b32 s0, exec_lo
	v_cndmask_b32_e32 v0, v2, v0, vcc_lo
	v_cmpx_ne_u64_e32 0, v[7:8]
	s_xor_b32 s10, exec_lo, s0
	s_cbranch_execz .LBB0_86
; %bb.1:
	s_load_b64 s[2:3], s[8:9], 0x50
	v_dual_mov_b32 v11, 2 :: v_dual_and_b32 v6, 2, v0
	v_mov_b32_e32 v10, 0
	v_and_b32_e32 v0, -3, v0
	v_mov_b32_e32 v12, 1
	s_mov_b32 s12, 0
	s_branch .LBB0_3
.LBB0_2:                                ;   in Loop: Header=BB0_3 Depth=1
	s_or_b32 exec_lo, exec_lo, s1
	v_sub_co_u32 v4, vcc_lo, v4, v29
	v_sub_co_ci_u32_e32 v5, vcc_lo, v5, v30, vcc_lo
	v_add_co_u32 v7, s0, v7, v29
	s_delay_alu instid0(VALU_DEP_1) | instskip(NEXT) | instid1(VALU_DEP_3)
	v_add_co_ci_u32_e64 v8, s0, v8, v30, s0
	v_cmp_eq_u64_e32 vcc_lo, 0, v[4:5]
	s_or_b32 s12, vcc_lo, s12
	s_delay_alu instid0(SALU_CYCLE_1)
	s_and_not1_b32 exec_lo, exec_lo, s12
	s_cbranch_execz .LBB0_85
.LBB0_3:                                ; =>This Loop Header: Depth=1
                                        ;     Child Loop BB0_6 Depth 2
                                        ;     Child Loop BB0_14 Depth 2
	;; [unrolled: 1-line block ×11, first 2 shown]
	v_cmp_gt_u64_e32 vcc_lo, 56, v[4:5]
	s_mov_b32 s1, exec_lo
                                        ; implicit-def: $vgpr2_vgpr3
                                        ; implicit-def: $sgpr4
	v_dual_cndmask_b32 v30, 0, v5 :: v_dual_cndmask_b32 v29, 56, v4
	v_cmpx_gt_u64_e32 8, v[4:5]
	s_xor_b32 s1, exec_lo, s1
	s_cbranch_execz .LBB0_9
; %bb.4:                                ;   in Loop: Header=BB0_3 Depth=1
	s_waitcnt vmcnt(0)
	v_mov_b32_e32 v2, 0
	v_mov_b32_e32 v3, 0
	s_mov_b64 s[4:5], 0
	s_mov_b32 s6, exec_lo
	v_cmpx_ne_u64_e32 0, v[4:5]
	s_cbranch_execz .LBB0_8
; %bb.5:                                ;   in Loop: Header=BB0_3 Depth=1
	v_lshlrev_b64 v[13:14], 3, v[29:30]
	v_dual_mov_b32 v2, 0 :: v_dual_mov_b32 v15, v8
	v_dual_mov_b32 v3, 0 :: v_dual_mov_b32 v14, v7
	s_mov_b32 s7, 0
	.p2align	6
.LBB0_6:                                ;   Parent Loop BB0_3 Depth=1
                                        ; =>  This Inner Loop Header: Depth=2
	flat_load_u8 v9, v[14:15]
	v_mov_b32_e32 v17, s11
	v_add_co_u32 v14, vcc_lo, v14, 1
	v_add_co_ci_u32_e32 v15, vcc_lo, 0, v15, vcc_lo
	s_waitcnt vmcnt(0) lgkmcnt(0)
	v_and_b32_e32 v16, 0xffff, v9
	s_delay_alu instid0(VALU_DEP_1) | instskip(SKIP_3) | instid1(VALU_DEP_2)
	v_lshlrev_b64 v[16:17], s4, v[16:17]
	s_add_u32 s4, s4, 8
	s_addc_u32 s5, s5, 0
	v_cmp_eq_u32_e64 s0, s4, v13
	v_or_b32_e32 v3, v17, v3
	s_delay_alu instid0(VALU_DEP_3) | instskip(NEXT) | instid1(VALU_DEP_3)
	v_or_b32_e32 v2, v16, v2
	s_or_b32 s7, s0, s7
	s_delay_alu instid0(SALU_CYCLE_1)
	s_and_not1_b32 exec_lo, exec_lo, s7
	s_cbranch_execnz .LBB0_6
; %bb.7:                                ;   in Loop: Header=BB0_3 Depth=1
	s_or_b32 exec_lo, exec_lo, s7
.LBB0_8:                                ;   in Loop: Header=BB0_3 Depth=1
	s_delay_alu instid0(SALU_CYCLE_1)
	s_or_b32 exec_lo, exec_lo, s6
	s_mov_b32 s4, 0
.LBB0_9:                                ;   in Loop: Header=BB0_3 Depth=1
	s_or_saveexec_b32 s0, s1
	v_dual_mov_b32 v9, s4 :: v_dual_mov_b32 v26, v8
	v_mov_b32_e32 v25, v7
	s_xor_b32 exec_lo, exec_lo, s0
	s_cbranch_execz .LBB0_11
; %bb.10:                               ;   in Loop: Header=BB0_3 Depth=1
	s_waitcnt vmcnt(0)
	flat_load_b64 v[2:3], v[7:8]
	v_add_co_u32 v25, vcc_lo, v7, 8
	v_add_co_ci_u32_e32 v26, vcc_lo, 0, v8, vcc_lo
	s_waitcnt vmcnt(0) lgkmcnt(0)
	v_and_b32_e32 v9, 0xff, v3
	v_and_b32_e32 v13, 0xff00, v3
	;; [unrolled: 1-line block ×4, first 2 shown]
	v_or3_b32 v2, v2, 0, 0
	s_delay_alu instid0(VALU_DEP_4) | instskip(SKIP_1) | instid1(VALU_DEP_2)
	v_or_b32_e32 v13, v9, v13
	v_add_nc_u32_e32 v9, -8, v29
	v_or3_b32 v3, v13, v14, v3
.LBB0_11:                               ;   in Loop: Header=BB0_3 Depth=1
	s_or_b32 exec_lo, exec_lo, s0
                                        ; implicit-def: $vgpr13_vgpr14
                                        ; implicit-def: $sgpr1
	s_delay_alu instid0(SALU_CYCLE_1) | instskip(NEXT) | instid1(VALU_DEP_2)
	s_mov_b32 s0, exec_lo
	v_cmpx_gt_u32_e32 8, v9
	s_xor_b32 s6, exec_lo, s0
	s_cbranch_execz .LBB0_17
; %bb.12:                               ;   in Loop: Header=BB0_3 Depth=1
	v_mov_b32_e32 v13, 0
	v_mov_b32_e32 v14, 0
	s_mov_b32 s7, exec_lo
	v_cmpx_ne_u32_e32 0, v9
	s_cbranch_execz .LBB0_16
; %bb.13:                               ;   in Loop: Header=BB0_3 Depth=1
	v_mov_b32_e32 v13, 0
	v_mov_b32_e32 v14, 0
	s_mov_b64 s[0:1], 0
	s_mov_b32 s13, 0
	s_mov_b64 s[4:5], 0
	.p2align	6
.LBB0_14:                               ;   Parent Loop BB0_3 Depth=1
                                        ; =>  This Inner Loop Header: Depth=2
	s_delay_alu instid0(SALU_CYCLE_1)
	v_add_co_u32 v15, vcc_lo, v25, s4
	v_add_co_ci_u32_e32 v16, vcc_lo, s5, v26, vcc_lo
	s_add_u32 s4, s4, 1
	s_addc_u32 s5, s5, 0
	v_cmp_eq_u32_e32 vcc_lo, s4, v9
	flat_load_u8 v15, v[15:16]
	s_waitcnt vmcnt(0) lgkmcnt(0)
	v_dual_mov_b32 v16, s11 :: v_dual_and_b32 v15, 0xffff, v15
	s_delay_alu instid0(VALU_DEP_1) | instskip(SKIP_3) | instid1(VALU_DEP_1)
	v_lshlrev_b64 v[15:16], s0, v[15:16]
	s_add_u32 s0, s0, 8
	s_addc_u32 s1, s1, 0
	s_or_b32 s13, vcc_lo, s13
	v_or_b32_e32 v14, v16, v14
	s_delay_alu instid0(VALU_DEP_2)
	v_or_b32_e32 v13, v15, v13
	s_and_not1_b32 exec_lo, exec_lo, s13
	s_cbranch_execnz .LBB0_14
; %bb.15:                               ;   in Loop: Header=BB0_3 Depth=1
	s_or_b32 exec_lo, exec_lo, s13
.LBB0_16:                               ;   in Loop: Header=BB0_3 Depth=1
	s_delay_alu instid0(SALU_CYCLE_1)
	s_or_b32 exec_lo, exec_lo, s7
	s_mov_b32 s1, 0
                                        ; implicit-def: $vgpr9
.LBB0_17:                               ;   in Loop: Header=BB0_3 Depth=1
	s_or_saveexec_b32 s0, s6
	v_mov_b32_e32 v17, s1
	s_xor_b32 exec_lo, exec_lo, s0
	s_cbranch_execz .LBB0_19
; %bb.18:                               ;   in Loop: Header=BB0_3 Depth=1
	flat_load_b64 v[13:14], v[25:26]
	v_add_co_u32 v25, vcc_lo, v25, 8
	v_add_nc_u32_e32 v17, -8, v9
	v_add_co_ci_u32_e32 v26, vcc_lo, 0, v26, vcc_lo
	s_waitcnt vmcnt(0) lgkmcnt(0)
	v_and_b32_e32 v15, 0xff, v14
	v_and_b32_e32 v16, 0xff00, v14
	;; [unrolled: 1-line block ×4, first 2 shown]
	v_or3_b32 v13, v13, 0, 0
	s_delay_alu instid0(VALU_DEP_4) | instskip(NEXT) | instid1(VALU_DEP_1)
	v_or_b32_e32 v15, v15, v16
	v_or3_b32 v14, v15, v18, v14
.LBB0_19:                               ;   in Loop: Header=BB0_3 Depth=1
	s_or_b32 exec_lo, exec_lo, s0
                                        ; implicit-def: $sgpr1
	s_delay_alu instid0(SALU_CYCLE_1)
	s_mov_b32 s0, exec_lo
	v_cmpx_gt_u32_e32 8, v17
	s_xor_b32 s6, exec_lo, s0
	s_cbranch_execz .LBB0_25
; %bb.20:                               ;   in Loop: Header=BB0_3 Depth=1
	v_mov_b32_e32 v15, 0
	v_mov_b32_e32 v16, 0
	s_mov_b32 s7, exec_lo
	v_cmpx_ne_u32_e32 0, v17
	s_cbranch_execz .LBB0_24
; %bb.21:                               ;   in Loop: Header=BB0_3 Depth=1
	v_mov_b32_e32 v15, 0
	v_mov_b32_e32 v16, 0
	s_mov_b64 s[0:1], 0
	s_mov_b32 s13, 0
	s_mov_b64 s[4:5], 0
	.p2align	6
.LBB0_22:                               ;   Parent Loop BB0_3 Depth=1
                                        ; =>  This Inner Loop Header: Depth=2
	s_delay_alu instid0(SALU_CYCLE_1)
	v_add_co_u32 v18, vcc_lo, v25, s4
	v_add_co_ci_u32_e32 v19, vcc_lo, s5, v26, vcc_lo
	s_add_u32 s4, s4, 1
	s_addc_u32 s5, s5, 0
	v_cmp_eq_u32_e32 vcc_lo, s4, v17
	flat_load_u8 v9, v[18:19]
	s_waitcnt vmcnt(0) lgkmcnt(0)
	v_dual_mov_b32 v19, s11 :: v_dual_and_b32 v18, 0xffff, v9
	s_delay_alu instid0(VALU_DEP_1) | instskip(SKIP_3) | instid1(VALU_DEP_1)
	v_lshlrev_b64 v[18:19], s0, v[18:19]
	s_add_u32 s0, s0, 8
	s_addc_u32 s1, s1, 0
	s_or_b32 s13, vcc_lo, s13
	v_or_b32_e32 v16, v19, v16
	s_delay_alu instid0(VALU_DEP_2)
	v_or_b32_e32 v15, v18, v15
	s_and_not1_b32 exec_lo, exec_lo, s13
	s_cbranch_execnz .LBB0_22
; %bb.23:                               ;   in Loop: Header=BB0_3 Depth=1
	s_or_b32 exec_lo, exec_lo, s13
.LBB0_24:                               ;   in Loop: Header=BB0_3 Depth=1
	s_delay_alu instid0(SALU_CYCLE_1)
	s_or_b32 exec_lo, exec_lo, s7
	s_mov_b32 s1, 0
                                        ; implicit-def: $vgpr17
.LBB0_25:                               ;   in Loop: Header=BB0_3 Depth=1
	s_or_saveexec_b32 s0, s6
	v_mov_b32_e32 v9, s1
	s_xor_b32 exec_lo, exec_lo, s0
	s_cbranch_execz .LBB0_27
; %bb.26:                               ;   in Loop: Header=BB0_3 Depth=1
	flat_load_b64 v[15:16], v[25:26]
	v_add_co_u32 v25, vcc_lo, v25, 8
	v_add_co_ci_u32_e32 v26, vcc_lo, 0, v26, vcc_lo
	s_waitcnt vmcnt(0) lgkmcnt(0)
	v_and_b32_e32 v9, 0xff, v16
	v_and_b32_e32 v18, 0xff00, v16
	;; [unrolled: 1-line block ×4, first 2 shown]
	v_or3_b32 v15, v15, 0, 0
	s_delay_alu instid0(VALU_DEP_4) | instskip(SKIP_1) | instid1(VALU_DEP_2)
	v_or_b32_e32 v18, v9, v18
	v_add_nc_u32_e32 v9, -8, v17
	v_or3_b32 v16, v18, v19, v16
.LBB0_27:                               ;   in Loop: Header=BB0_3 Depth=1
	s_or_b32 exec_lo, exec_lo, s0
                                        ; implicit-def: $vgpr17_vgpr18
                                        ; implicit-def: $sgpr1
	s_delay_alu instid0(SALU_CYCLE_1) | instskip(NEXT) | instid1(VALU_DEP_1)
	s_mov_b32 s0, exec_lo
	v_cmpx_gt_u32_e32 8, v9
	s_xor_b32 s6, exec_lo, s0
	s_cbranch_execz .LBB0_33
; %bb.28:                               ;   in Loop: Header=BB0_3 Depth=1
	v_mov_b32_e32 v17, 0
	v_mov_b32_e32 v18, 0
	s_mov_b32 s7, exec_lo
	v_cmpx_ne_u32_e32 0, v9
	s_cbranch_execz .LBB0_32
; %bb.29:                               ;   in Loop: Header=BB0_3 Depth=1
	v_mov_b32_e32 v17, 0
	v_mov_b32_e32 v18, 0
	s_mov_b64 s[0:1], 0
	s_mov_b32 s13, 0
	s_mov_b64 s[4:5], 0
	.p2align	6
.LBB0_30:                               ;   Parent Loop BB0_3 Depth=1
                                        ; =>  This Inner Loop Header: Depth=2
	s_delay_alu instid0(SALU_CYCLE_1)
	v_add_co_u32 v19, vcc_lo, v25, s4
	v_add_co_ci_u32_e32 v20, vcc_lo, s5, v26, vcc_lo
	s_add_u32 s4, s4, 1
	s_addc_u32 s5, s5, 0
	v_cmp_eq_u32_e32 vcc_lo, s4, v9
	flat_load_u8 v19, v[19:20]
	s_waitcnt vmcnt(0) lgkmcnt(0)
	v_dual_mov_b32 v20, s11 :: v_dual_and_b32 v19, 0xffff, v19
	s_delay_alu instid0(VALU_DEP_1) | instskip(SKIP_3) | instid1(VALU_DEP_1)
	v_lshlrev_b64 v[19:20], s0, v[19:20]
	s_add_u32 s0, s0, 8
	s_addc_u32 s1, s1, 0
	s_or_b32 s13, vcc_lo, s13
	v_or_b32_e32 v18, v20, v18
	s_delay_alu instid0(VALU_DEP_2)
	v_or_b32_e32 v17, v19, v17
	s_and_not1_b32 exec_lo, exec_lo, s13
	s_cbranch_execnz .LBB0_30
; %bb.31:                               ;   in Loop: Header=BB0_3 Depth=1
	s_or_b32 exec_lo, exec_lo, s13
.LBB0_32:                               ;   in Loop: Header=BB0_3 Depth=1
	s_delay_alu instid0(SALU_CYCLE_1)
	s_or_b32 exec_lo, exec_lo, s7
	s_mov_b32 s1, 0
                                        ; implicit-def: $vgpr9
.LBB0_33:                               ;   in Loop: Header=BB0_3 Depth=1
	s_or_saveexec_b32 s0, s6
	v_mov_b32_e32 v21, s1
	s_xor_b32 exec_lo, exec_lo, s0
	s_cbranch_execz .LBB0_35
; %bb.34:                               ;   in Loop: Header=BB0_3 Depth=1
	flat_load_b64 v[17:18], v[25:26]
	v_add_co_u32 v25, vcc_lo, v25, 8
	v_add_nc_u32_e32 v21, -8, v9
	v_add_co_ci_u32_e32 v26, vcc_lo, 0, v26, vcc_lo
	s_waitcnt vmcnt(0) lgkmcnt(0)
	v_and_b32_e32 v19, 0xff, v18
	v_and_b32_e32 v20, 0xff00, v18
	;; [unrolled: 1-line block ×4, first 2 shown]
	v_or3_b32 v17, v17, 0, 0
	s_delay_alu instid0(VALU_DEP_4) | instskip(NEXT) | instid1(VALU_DEP_1)
	v_or_b32_e32 v19, v19, v20
	v_or3_b32 v18, v19, v22, v18
.LBB0_35:                               ;   in Loop: Header=BB0_3 Depth=1
	s_or_b32 exec_lo, exec_lo, s0
                                        ; implicit-def: $sgpr1
	s_delay_alu instid0(SALU_CYCLE_1)
	s_mov_b32 s0, exec_lo
	v_cmpx_gt_u32_e32 8, v21
	s_xor_b32 s6, exec_lo, s0
	s_cbranch_execz .LBB0_41
; %bb.36:                               ;   in Loop: Header=BB0_3 Depth=1
	v_mov_b32_e32 v19, 0
	v_mov_b32_e32 v20, 0
	s_mov_b32 s7, exec_lo
	v_cmpx_ne_u32_e32 0, v21
	s_cbranch_execz .LBB0_40
; %bb.37:                               ;   in Loop: Header=BB0_3 Depth=1
	v_mov_b32_e32 v19, 0
	v_mov_b32_e32 v20, 0
	s_mov_b64 s[0:1], 0
	s_mov_b32 s13, 0
	s_mov_b64 s[4:5], 0
	.p2align	6
.LBB0_38:                               ;   Parent Loop BB0_3 Depth=1
                                        ; =>  This Inner Loop Header: Depth=2
	s_delay_alu instid0(SALU_CYCLE_1)
	v_add_co_u32 v22, vcc_lo, v25, s4
	v_add_co_ci_u32_e32 v23, vcc_lo, s5, v26, vcc_lo
	s_add_u32 s4, s4, 1
	s_addc_u32 s5, s5, 0
	v_cmp_eq_u32_e32 vcc_lo, s4, v21
	flat_load_u8 v9, v[22:23]
	s_waitcnt vmcnt(0) lgkmcnt(0)
	v_dual_mov_b32 v23, s11 :: v_dual_and_b32 v22, 0xffff, v9
	s_delay_alu instid0(VALU_DEP_1) | instskip(SKIP_3) | instid1(VALU_DEP_1)
	v_lshlrev_b64 v[22:23], s0, v[22:23]
	s_add_u32 s0, s0, 8
	s_addc_u32 s1, s1, 0
	s_or_b32 s13, vcc_lo, s13
	v_or_b32_e32 v20, v23, v20
	s_delay_alu instid0(VALU_DEP_2)
	v_or_b32_e32 v19, v22, v19
	s_and_not1_b32 exec_lo, exec_lo, s13
	s_cbranch_execnz .LBB0_38
; %bb.39:                               ;   in Loop: Header=BB0_3 Depth=1
	s_or_b32 exec_lo, exec_lo, s13
.LBB0_40:                               ;   in Loop: Header=BB0_3 Depth=1
	s_delay_alu instid0(SALU_CYCLE_1)
	s_or_b32 exec_lo, exec_lo, s7
	s_mov_b32 s1, 0
                                        ; implicit-def: $vgpr21
.LBB0_41:                               ;   in Loop: Header=BB0_3 Depth=1
	s_or_saveexec_b32 s0, s6
	v_mov_b32_e32 v9, s1
	s_xor_b32 exec_lo, exec_lo, s0
	s_cbranch_execz .LBB0_43
; %bb.42:                               ;   in Loop: Header=BB0_3 Depth=1
	flat_load_b64 v[19:20], v[25:26]
	v_add_co_u32 v25, vcc_lo, v25, 8
	v_add_co_ci_u32_e32 v26, vcc_lo, 0, v26, vcc_lo
	s_waitcnt vmcnt(0) lgkmcnt(0)
	v_and_b32_e32 v9, 0xff, v20
	v_and_b32_e32 v22, 0xff00, v20
	;; [unrolled: 1-line block ×4, first 2 shown]
	v_or3_b32 v19, v19, 0, 0
	s_delay_alu instid0(VALU_DEP_4) | instskip(SKIP_1) | instid1(VALU_DEP_2)
	v_or_b32_e32 v22, v9, v22
	v_add_nc_u32_e32 v9, -8, v21
	v_or3_b32 v20, v22, v23, v20
.LBB0_43:                               ;   in Loop: Header=BB0_3 Depth=1
	s_or_b32 exec_lo, exec_lo, s0
                                        ; implicit-def: $vgpr21_vgpr22
                                        ; implicit-def: $sgpr1
	s_delay_alu instid0(SALU_CYCLE_1) | instskip(NEXT) | instid1(VALU_DEP_1)
	s_mov_b32 s0, exec_lo
	v_cmpx_gt_u32_e32 8, v9
	s_xor_b32 s6, exec_lo, s0
	s_cbranch_execz .LBB0_49
; %bb.44:                               ;   in Loop: Header=BB0_3 Depth=1
	v_mov_b32_e32 v21, 0
	v_mov_b32_e32 v22, 0
	s_mov_b32 s7, exec_lo
	v_cmpx_ne_u32_e32 0, v9
	s_cbranch_execz .LBB0_48
; %bb.45:                               ;   in Loop: Header=BB0_3 Depth=1
	v_mov_b32_e32 v21, 0
	v_mov_b32_e32 v22, 0
	s_mov_b64 s[0:1], 0
	s_mov_b32 s13, 0
	s_mov_b64 s[4:5], 0
	.p2align	6
.LBB0_46:                               ;   Parent Loop BB0_3 Depth=1
                                        ; =>  This Inner Loop Header: Depth=2
	s_delay_alu instid0(SALU_CYCLE_1)
	v_add_co_u32 v23, vcc_lo, v25, s4
	v_add_co_ci_u32_e32 v24, vcc_lo, s5, v26, vcc_lo
	s_add_u32 s4, s4, 1
	s_addc_u32 s5, s5, 0
	v_cmp_eq_u32_e32 vcc_lo, s4, v9
	flat_load_u8 v23, v[23:24]
	s_waitcnt vmcnt(0) lgkmcnt(0)
	v_dual_mov_b32 v24, s11 :: v_dual_and_b32 v23, 0xffff, v23
	s_delay_alu instid0(VALU_DEP_1) | instskip(SKIP_3) | instid1(VALU_DEP_1)
	v_lshlrev_b64 v[23:24], s0, v[23:24]
	s_add_u32 s0, s0, 8
	s_addc_u32 s1, s1, 0
	s_or_b32 s13, vcc_lo, s13
	v_or_b32_e32 v22, v24, v22
	s_delay_alu instid0(VALU_DEP_2)
	v_or_b32_e32 v21, v23, v21
	s_and_not1_b32 exec_lo, exec_lo, s13
	s_cbranch_execnz .LBB0_46
; %bb.47:                               ;   in Loop: Header=BB0_3 Depth=1
	s_or_b32 exec_lo, exec_lo, s13
.LBB0_48:                               ;   in Loop: Header=BB0_3 Depth=1
	s_delay_alu instid0(SALU_CYCLE_1)
	s_or_b32 exec_lo, exec_lo, s7
	s_mov_b32 s1, 0
                                        ; implicit-def: $vgpr9
.LBB0_49:                               ;   in Loop: Header=BB0_3 Depth=1
	s_or_saveexec_b32 s0, s6
	v_mov_b32_e32 v27, s1
	s_xor_b32 exec_lo, exec_lo, s0
	s_cbranch_execz .LBB0_51
; %bb.50:                               ;   in Loop: Header=BB0_3 Depth=1
	flat_load_b64 v[21:22], v[25:26]
	v_add_co_u32 v25, vcc_lo, v25, 8
	v_add_nc_u32_e32 v27, -8, v9
	v_add_co_ci_u32_e32 v26, vcc_lo, 0, v26, vcc_lo
	s_waitcnt vmcnt(0) lgkmcnt(0)
	v_and_b32_e32 v23, 0xff, v22
	v_and_b32_e32 v24, 0xff00, v22
	;; [unrolled: 1-line block ×4, first 2 shown]
	v_or3_b32 v21, v21, 0, 0
	s_delay_alu instid0(VALU_DEP_4) | instskip(NEXT) | instid1(VALU_DEP_1)
	v_or_b32_e32 v23, v23, v24
	v_or3_b32 v22, v23, v28, v22
.LBB0_51:                               ;   in Loop: Header=BB0_3 Depth=1
	s_or_b32 exec_lo, exec_lo, s0
	s_delay_alu instid0(SALU_CYCLE_1)
	s_mov_b32 s0, exec_lo
	v_cmpx_gt_u32_e32 8, v27
	s_xor_b32 s4, exec_lo, s0
	s_cbranch_execz .LBB0_57
; %bb.52:                               ;   in Loop: Header=BB0_3 Depth=1
	v_mov_b32_e32 v23, 0
	v_mov_b32_e32 v24, 0
	s_mov_b32 s5, exec_lo
	v_cmpx_ne_u32_e32 0, v27
	s_cbranch_execz .LBB0_56
; %bb.53:                               ;   in Loop: Header=BB0_3 Depth=1
	v_mov_b32_e32 v23, 0
	v_mov_b32_e32 v24, 0
	s_mov_b64 s[0:1], 0
	s_mov_b32 s6, 0
	.p2align	6
.LBB0_54:                               ;   Parent Loop BB0_3 Depth=1
                                        ; =>  This Inner Loop Header: Depth=2
	flat_load_u8 v9, v[25:26]
	v_dual_mov_b32 v32, s11 :: v_dual_add_nc_u32 v27, -1, v27
	v_add_co_u32 v25, vcc_lo, v25, 1
	v_add_co_ci_u32_e32 v26, vcc_lo, 0, v26, vcc_lo
	s_delay_alu instid0(VALU_DEP_3) | instskip(SKIP_2) | instid1(VALU_DEP_1)
	v_cmp_eq_u32_e32 vcc_lo, 0, v27
	s_waitcnt vmcnt(0) lgkmcnt(0)
	v_and_b32_e32 v31, 0xffff, v9
	v_lshlrev_b64 v[31:32], s0, v[31:32]
	s_add_u32 s0, s0, 8
	s_addc_u32 s1, s1, 0
	s_or_b32 s6, vcc_lo, s6
	s_delay_alu instid0(VALU_DEP_1) | instskip(NEXT) | instid1(VALU_DEP_2)
	v_or_b32_e32 v24, v32, v24
	v_or_b32_e32 v23, v31, v23
	s_and_not1_b32 exec_lo, exec_lo, s6
	s_cbranch_execnz .LBB0_54
; %bb.55:                               ;   in Loop: Header=BB0_3 Depth=1
	s_or_b32 exec_lo, exec_lo, s6
.LBB0_56:                               ;   in Loop: Header=BB0_3 Depth=1
	s_delay_alu instid0(SALU_CYCLE_1)
	s_or_b32 exec_lo, exec_lo, s5
                                        ; implicit-def: $vgpr25_vgpr26
.LBB0_57:                               ;   in Loop: Header=BB0_3 Depth=1
	s_and_not1_saveexec_b32 s0, s4
	s_cbranch_execz .LBB0_59
; %bb.58:                               ;   in Loop: Header=BB0_3 Depth=1
	flat_load_b64 v[23:24], v[25:26]
	s_waitcnt vmcnt(0) lgkmcnt(0)
	v_and_b32_e32 v9, 0xff, v24
	v_and_b32_e32 v25, 0xff00, v24
	;; [unrolled: 1-line block ×4, first 2 shown]
	v_or3_b32 v23, v23, 0, 0
	s_delay_alu instid0(VALU_DEP_4) | instskip(NEXT) | instid1(VALU_DEP_1)
	v_or_b32_e32 v9, v9, v25
	v_or3_b32 v24, v9, v26, v24
.LBB0_59:                               ;   in Loop: Header=BB0_3 Depth=1
	s_or_b32 exec_lo, exec_lo, s0
	v_readfirstlane_b32 s0, v33
	v_mov_b32_e32 v31, 0
	v_mov_b32_e32 v32, 0
	s_delay_alu instid0(VALU_DEP_3) | instskip(NEXT) | instid1(VALU_DEP_1)
	v_cmp_eq_u32_e64 s0, s0, v33
	s_and_saveexec_b32 s1, s0
	s_cbranch_execz .LBB0_65
; %bb.60:                               ;   in Loop: Header=BB0_3 Depth=1
	s_waitcnt lgkmcnt(0)
	global_load_b64 v[27:28], v10, s[2:3] offset:24 glc
	s_waitcnt vmcnt(0)
	buffer_gl1_inv
	buffer_gl0_inv
	s_clause 0x1
	global_load_b64 v[25:26], v10, s[2:3] offset:40
	global_load_b64 v[31:32], v10, s[2:3]
	s_mov_b32 s4, exec_lo
	s_waitcnt vmcnt(1)
	v_and_b32_e32 v9, v26, v28
	v_and_b32_e32 v25, v25, v27
	s_delay_alu instid0(VALU_DEP_2) | instskip(NEXT) | instid1(VALU_DEP_2)
	v_mul_lo_u32 v9, v9, 24
	v_mul_hi_u32 v26, v25, 24
	v_mul_lo_u32 v25, v25, 24
	s_delay_alu instid0(VALU_DEP_2) | instskip(SKIP_1) | instid1(VALU_DEP_2)
	v_add_nc_u32_e32 v9, v26, v9
	s_waitcnt vmcnt(0)
	v_add_co_u32 v25, vcc_lo, v31, v25
	s_delay_alu instid0(VALU_DEP_2)
	v_add_co_ci_u32_e32 v26, vcc_lo, v32, v9, vcc_lo
	global_load_b64 v[25:26], v[25:26], off glc
	s_waitcnt vmcnt(0)
	global_atomic_cmpswap_b64 v[31:32], v10, v[25:28], s[2:3] offset:24 glc
	s_waitcnt vmcnt(0)
	buffer_gl1_inv
	buffer_gl0_inv
	v_cmpx_ne_u64_e64 v[31:32], v[27:28]
	s_cbranch_execz .LBB0_64
; %bb.61:                               ;   in Loop: Header=BB0_3 Depth=1
	s_mov_b32 s5, 0
	.p2align	6
.LBB0_62:                               ;   Parent Loop BB0_3 Depth=1
                                        ; =>  This Inner Loop Header: Depth=2
	s_sleep 1
	s_clause 0x1
	global_load_b64 v[25:26], v10, s[2:3] offset:40
	global_load_b64 v[34:35], v10, s[2:3]
	v_dual_mov_b32 v27, v31 :: v_dual_mov_b32 v28, v32
	s_waitcnt vmcnt(1)
	s_delay_alu instid0(VALU_DEP_1) | instskip(SKIP_1) | instid1(VALU_DEP_1)
	v_and_b32_e32 v9, v25, v27
	s_waitcnt vmcnt(0)
	v_mad_u64_u32 v[31:32], null, v9, 24, v[34:35]
	s_delay_alu instid0(VALU_DEP_1) | instskip(NEXT) | instid1(VALU_DEP_1)
	v_dual_mov_b32 v9, v32 :: v_dual_and_b32 v34, v26, v28
	v_mad_u64_u32 v[25:26], null, v34, 24, v[9:10]
	s_delay_alu instid0(VALU_DEP_1)
	v_mov_b32_e32 v32, v25
	global_load_b64 v[25:26], v[31:32], off glc
	s_waitcnt vmcnt(0)
	global_atomic_cmpswap_b64 v[31:32], v10, v[25:28], s[2:3] offset:24 glc
	s_waitcnt vmcnt(0)
	buffer_gl1_inv
	buffer_gl0_inv
	v_cmp_eq_u64_e32 vcc_lo, v[31:32], v[27:28]
	s_or_b32 s5, vcc_lo, s5
	s_delay_alu instid0(SALU_CYCLE_1)
	s_and_not1_b32 exec_lo, exec_lo, s5
	s_cbranch_execnz .LBB0_62
; %bb.63:                               ;   in Loop: Header=BB0_3 Depth=1
	s_or_b32 exec_lo, exec_lo, s5
.LBB0_64:                               ;   in Loop: Header=BB0_3 Depth=1
	s_delay_alu instid0(SALU_CYCLE_1)
	s_or_b32 exec_lo, exec_lo, s4
.LBB0_65:                               ;   in Loop: Header=BB0_3 Depth=1
	s_delay_alu instid0(SALU_CYCLE_1)
	s_or_b32 exec_lo, exec_lo, s1
	s_waitcnt lgkmcnt(0)
	s_clause 0x1
	global_load_b64 v[34:35], v10, s[2:3] offset:40
	global_load_b128 v[25:28], v10, s[2:3]
	v_readfirstlane_b32 s4, v31
	v_readfirstlane_b32 s5, v32
	s_mov_b32 s1, exec_lo
	s_waitcnt vmcnt(1)
	v_readfirstlane_b32 s6, v34
	v_readfirstlane_b32 s7, v35
	s_delay_alu instid0(VALU_DEP_1) | instskip(NEXT) | instid1(SALU_CYCLE_1)
	s_and_b64 s[6:7], s[4:5], s[6:7]
	s_mul_i32 s13, s7, 24
	s_mul_hi_u32 s14, s6, 24
	s_mul_i32 s15, s6, 24
	s_add_i32 s14, s14, s13
	s_waitcnt vmcnt(0)
	v_add_co_u32 v31, vcc_lo, v25, s15
	v_add_co_ci_u32_e32 v32, vcc_lo, s14, v26, vcc_lo
	s_and_saveexec_b32 s13, s0
	s_cbranch_execz .LBB0_67
; %bb.66:                               ;   in Loop: Header=BB0_3 Depth=1
	v_mov_b32_e32 v9, s1
	global_store_b128 v[31:32], v[9:12], off offset:8
.LBB0_67:                               ;   in Loop: Header=BB0_3 Depth=1
	s_or_b32 exec_lo, exec_lo, s13
	v_cmp_lt_u64_e32 vcc_lo, 56, v[4:5]
	v_or_b32_e32 v9, 0, v1
	v_or_b32_e32 v34, v0, v6
	v_lshl_add_u32 v35, v29, 2, 28
	s_lshl_b64 s[6:7], s[6:7], 12
	s_delay_alu instid0(SALU_CYCLE_1) | instskip(NEXT) | instid1(VALU_DEP_1)
	v_add_co_u32 v27, s1, v27, s6
	v_add_co_ci_u32_e64 v28, s1, s7, v28, s1
	v_dual_cndmask_b32 v1, v9, v1 :: v_dual_cndmask_b32 v0, v34, v0
	v_and_b32_e32 v9, 0x1e0, v35
	v_lshlrev_b32_e32 v34, 6, v33
	v_readfirstlane_b32 s6, v27
	v_readfirstlane_b32 s7, v28
	s_delay_alu instid0(VALU_DEP_4)
	v_and_or_b32 v0, 0xffffff1f, v0, v9
	s_clause 0x3
	global_store_b128 v34, v[0:3], s[6:7]
	global_store_b128 v34, v[13:16], s[6:7] offset:16
	global_store_b128 v34, v[17:20], s[6:7] offset:32
	;; [unrolled: 1-line block ×3, first 2 shown]
	s_and_saveexec_b32 s1, s0
	s_cbranch_execz .LBB0_75
; %bb.68:                               ;   in Loop: Header=BB0_3 Depth=1
	s_clause 0x1
	global_load_b64 v[17:18], v10, s[2:3] offset:32 glc
	global_load_b64 v[0:1], v10, s[2:3] offset:40
	v_dual_mov_b32 v15, s4 :: v_dual_mov_b32 v16, s5
	s_waitcnt vmcnt(0)
	v_readfirstlane_b32 s6, v0
	v_readfirstlane_b32 s7, v1
	s_delay_alu instid0(VALU_DEP_1) | instskip(NEXT) | instid1(SALU_CYCLE_1)
	s_and_b64 s[6:7], s[6:7], s[4:5]
	s_mul_i32 s7, s7, 24
	s_mul_hi_u32 s13, s6, 24
	s_mul_i32 s6, s6, 24
	s_add_i32 s13, s13, s7
	v_add_co_u32 v13, vcc_lo, v25, s6
	v_add_co_ci_u32_e32 v14, vcc_lo, s13, v26, vcc_lo
	s_mov_b32 s6, exec_lo
	global_store_b64 v[13:14], v[17:18], off
	s_waitcnt_vscnt null, 0x0
	global_atomic_cmpswap_b64 v[2:3], v10, v[15:18], s[2:3] offset:32 glc
	s_waitcnt vmcnt(0)
	v_cmpx_ne_u64_e64 v[2:3], v[17:18]
	s_cbranch_execz .LBB0_71
; %bb.69:                               ;   in Loop: Header=BB0_3 Depth=1
	s_mov_b32 s7, 0
.LBB0_70:                               ;   Parent Loop BB0_3 Depth=1
                                        ; =>  This Inner Loop Header: Depth=2
	v_dual_mov_b32 v0, s4 :: v_dual_mov_b32 v1, s5
	s_sleep 1
	global_store_b64 v[13:14], v[2:3], off
	s_waitcnt_vscnt null, 0x0
	global_atomic_cmpswap_b64 v[0:1], v10, v[0:3], s[2:3] offset:32 glc
	s_waitcnt vmcnt(0)
	v_cmp_eq_u64_e32 vcc_lo, v[0:1], v[2:3]
	v_dual_mov_b32 v3, v1 :: v_dual_mov_b32 v2, v0
	s_or_b32 s7, vcc_lo, s7
	s_delay_alu instid0(SALU_CYCLE_1)
	s_and_not1_b32 exec_lo, exec_lo, s7
	s_cbranch_execnz .LBB0_70
.LBB0_71:                               ;   in Loop: Header=BB0_3 Depth=1
	s_or_b32 exec_lo, exec_lo, s6
	global_load_b64 v[0:1], v10, s[2:3] offset:16
	s_mov_b32 s7, exec_lo
	s_mov_b32 s6, exec_lo
	v_mbcnt_lo_u32_b32 v2, s7, 0
	s_delay_alu instid0(VALU_DEP_1)
	v_cmpx_eq_u32_e32 0, v2
	s_cbranch_execz .LBB0_73
; %bb.72:                               ;   in Loop: Header=BB0_3 Depth=1
	s_bcnt1_i32_b32 s7, s7
	s_delay_alu instid0(SALU_CYCLE_1)
	v_mov_b32_e32 v9, s7
	s_waitcnt vmcnt(0)
	global_atomic_add_u64 v[0:1], v[9:10], off offset:8
.LBB0_73:                               ;   in Loop: Header=BB0_3 Depth=1
	s_or_b32 exec_lo, exec_lo, s6
	s_waitcnt vmcnt(0)
	global_load_b64 v[2:3], v[0:1], off offset:16
	s_waitcnt vmcnt(0)
	v_cmp_eq_u64_e32 vcc_lo, 0, v[2:3]
	s_cbranch_vccnz .LBB0_75
; %bb.74:                               ;   in Loop: Header=BB0_3 Depth=1
	global_load_b32 v9, v[0:1], off offset:24
	s_waitcnt vmcnt(0)
	v_and_b32_e32 v0, 0xffffff, v9
	s_waitcnt_vscnt null, 0x0
	global_store_b64 v[2:3], v[9:10], off
	v_readfirstlane_b32 m0, v0
	s_sendmsg sendmsg(MSG_INTERRUPT)
.LBB0_75:                               ;   in Loop: Header=BB0_3 Depth=1
	s_or_b32 exec_lo, exec_lo, s1
	v_add_co_u32 v0, vcc_lo, v27, v34
	v_add_co_ci_u32_e32 v1, vcc_lo, 0, v28, vcc_lo
	s_branch .LBB0_79
	.p2align	6
.LBB0_76:                               ;   in Loop: Header=BB0_79 Depth=2
	s_or_b32 exec_lo, exec_lo, s1
	s_delay_alu instid0(VALU_DEP_1) | instskip(NEXT) | instid1(VALU_DEP_1)
	v_readfirstlane_b32 s1, v2
	s_cmp_eq_u32 s1, 0
	s_cbranch_scc1 .LBB0_78
; %bb.77:                               ;   in Loop: Header=BB0_79 Depth=2
	s_sleep 1
	s_cbranch_execnz .LBB0_79
	s_branch .LBB0_81
	.p2align	6
.LBB0_78:                               ;   in Loop: Header=BB0_3 Depth=1
	s_branch .LBB0_81
.LBB0_79:                               ;   Parent Loop BB0_3 Depth=1
                                        ; =>  This Inner Loop Header: Depth=2
	v_mov_b32_e32 v2, 1
	s_and_saveexec_b32 s1, s0
	s_cbranch_execz .LBB0_76
; %bb.80:                               ;   in Loop: Header=BB0_79 Depth=2
	global_load_b32 v2, v[31:32], off offset:20 glc
	s_waitcnt vmcnt(0)
	buffer_gl1_inv
	buffer_gl0_inv
	v_and_b32_e32 v2, 1, v2
	s_branch .LBB0_76
.LBB0_81:                               ;   in Loop: Header=BB0_3 Depth=1
	global_load_b128 v[0:3], v[0:1], off
	s_and_saveexec_b32 s1, s0
	s_cbranch_execz .LBB0_2
; %bb.82:                               ;   in Loop: Header=BB0_3 Depth=1
	s_clause 0x2
	global_load_b64 v[2:3], v10, s[2:3] offset:40
	global_load_b64 v[17:18], v10, s[2:3] offset:24 glc
	global_load_b64 v[15:16], v10, s[2:3]
	s_waitcnt vmcnt(2)
	v_add_co_u32 v9, vcc_lo, v2, 1
	v_add_co_ci_u32_e32 v19, vcc_lo, 0, v3, vcc_lo
	s_delay_alu instid0(VALU_DEP_2) | instskip(NEXT) | instid1(VALU_DEP_2)
	v_add_co_u32 v13, vcc_lo, v9, s4
	v_add_co_ci_u32_e32 v14, vcc_lo, s5, v19, vcc_lo
	s_delay_alu instid0(VALU_DEP_1) | instskip(SKIP_1) | instid1(VALU_DEP_1)
	v_cmp_eq_u64_e32 vcc_lo, 0, v[13:14]
	v_dual_cndmask_b32 v14, v14, v19 :: v_dual_cndmask_b32 v13, v13, v9
	v_and_b32_e32 v3, v14, v3
	s_delay_alu instid0(VALU_DEP_2) | instskip(NEXT) | instid1(VALU_DEP_2)
	v_and_b32_e32 v2, v13, v2
	v_mul_lo_u32 v3, v3, 24
	s_delay_alu instid0(VALU_DEP_2) | instskip(SKIP_1) | instid1(VALU_DEP_2)
	v_mul_hi_u32 v9, v2, 24
	v_mul_lo_u32 v2, v2, 24
	v_add_nc_u32_e32 v3, v9, v3
	s_waitcnt vmcnt(0)
	s_delay_alu instid0(VALU_DEP_2) | instskip(SKIP_1) | instid1(VALU_DEP_3)
	v_add_co_u32 v2, vcc_lo, v15, v2
	v_mov_b32_e32 v15, v17
	v_add_co_ci_u32_e32 v3, vcc_lo, v16, v3, vcc_lo
	v_mov_b32_e32 v16, v18
	global_store_b64 v[2:3], v[17:18], off
	s_waitcnt_vscnt null, 0x0
	global_atomic_cmpswap_b64 v[15:16], v10, v[13:16], s[2:3] offset:24 glc
	s_waitcnt vmcnt(0)
	v_cmp_ne_u64_e32 vcc_lo, v[15:16], v[17:18]
	s_and_b32 exec_lo, exec_lo, vcc_lo
	s_cbranch_execz .LBB0_2
; %bb.83:                               ;   in Loop: Header=BB0_3 Depth=1
	s_mov_b32 s0, 0
.LBB0_84:                               ;   Parent Loop BB0_3 Depth=1
                                        ; =>  This Inner Loop Header: Depth=2
	s_sleep 1
	global_store_b64 v[2:3], v[15:16], off
	s_waitcnt_vscnt null, 0x0
	global_atomic_cmpswap_b64 v[17:18], v10, v[13:16], s[2:3] offset:24 glc
	s_waitcnt vmcnt(0)
	v_cmp_eq_u64_e32 vcc_lo, v[17:18], v[15:16]
	v_dual_mov_b32 v15, v17 :: v_dual_mov_b32 v16, v18
	s_or_b32 s0, vcc_lo, s0
	s_delay_alu instid0(SALU_CYCLE_1)
	s_and_not1_b32 exec_lo, exec_lo, s0
	s_cbranch_execnz .LBB0_84
	s_branch .LBB0_2
.LBB0_85:
	s_or_b32 exec_lo, exec_lo, s12
                                        ; implicit-def: $vgpr0
                                        ; implicit-def: $vgpr33
                                        ; implicit-def: $vgpr1
.LBB0_86:
	s_and_not1_saveexec_b32 s1, s10
	s_cbranch_execz .LBB0_108
; %bb.87:
	s_load_b64 s[2:3], s[8:9], 0x50
	v_readfirstlane_b32 s0, v33
	v_mov_b32_e32 v8, 0
	v_mov_b32_e32 v9, 0
	s_delay_alu instid0(VALU_DEP_3) | instskip(NEXT) | instid1(VALU_DEP_1)
	v_cmp_eq_u32_e64 s0, s0, v33
	s_and_saveexec_b32 s4, s0
	s_cbranch_execz .LBB0_93
; %bb.88:
	s_waitcnt vmcnt(0)
	v_mov_b32_e32 v2, 0
	s_mov_b32 s5, exec_lo
	s_waitcnt lgkmcnt(0)
	global_load_b64 v[5:6], v2, s[2:3] offset:24 glc
	s_waitcnt vmcnt(0)
	buffer_gl1_inv
	buffer_gl0_inv
	s_clause 0x1
	global_load_b64 v[3:4], v2, s[2:3] offset:40
	global_load_b64 v[7:8], v2, s[2:3]
	s_waitcnt vmcnt(1)
	v_and_b32_e32 v3, v3, v5
	v_and_b32_e32 v4, v4, v6
	s_delay_alu instid0(VALU_DEP_2) | instskip(NEXT) | instid1(VALU_DEP_2)
	v_mul_hi_u32 v9, v3, 24
	v_mul_lo_u32 v4, v4, 24
	v_mul_lo_u32 v3, v3, 24
	s_delay_alu instid0(VALU_DEP_2) | instskip(SKIP_1) | instid1(VALU_DEP_2)
	v_add_nc_u32_e32 v4, v9, v4
	s_waitcnt vmcnt(0)
	v_add_co_u32 v3, vcc_lo, v7, v3
	s_delay_alu instid0(VALU_DEP_2)
	v_add_co_ci_u32_e32 v4, vcc_lo, v8, v4, vcc_lo
	global_load_b64 v[3:4], v[3:4], off glc
	s_waitcnt vmcnt(0)
	global_atomic_cmpswap_b64 v[8:9], v2, v[3:6], s[2:3] offset:24 glc
	s_waitcnt vmcnt(0)
	buffer_gl1_inv
	buffer_gl0_inv
	v_cmpx_ne_u64_e64 v[8:9], v[5:6]
	s_cbranch_execz .LBB0_92
; %bb.89:
	s_mov_b32 s6, 0
	.p2align	6
.LBB0_90:                               ; =>This Inner Loop Header: Depth=1
	s_sleep 1
	s_clause 0x1
	global_load_b64 v[3:4], v2, s[2:3] offset:40
	global_load_b64 v[10:11], v2, s[2:3]
	v_dual_mov_b32 v5, v8 :: v_dual_mov_b32 v6, v9
	s_waitcnt vmcnt(1)
	s_delay_alu instid0(VALU_DEP_1) | instskip(NEXT) | instid1(VALU_DEP_2)
	v_and_b32_e32 v3, v3, v5
	v_and_b32_e32 v4, v4, v6
	s_waitcnt vmcnt(0)
	s_delay_alu instid0(VALU_DEP_2) | instskip(NEXT) | instid1(VALU_DEP_1)
	v_mad_u64_u32 v[7:8], null, v3, 24, v[10:11]
	v_mov_b32_e32 v3, v8
	s_delay_alu instid0(VALU_DEP_1)
	v_mad_u64_u32 v[8:9], null, v4, 24, v[3:4]
	global_load_b64 v[3:4], v[7:8], off glc
	s_waitcnt vmcnt(0)
	global_atomic_cmpswap_b64 v[8:9], v2, v[3:6], s[2:3] offset:24 glc
	s_waitcnt vmcnt(0)
	buffer_gl1_inv
	buffer_gl0_inv
	v_cmp_eq_u64_e32 vcc_lo, v[8:9], v[5:6]
	s_or_b32 s6, vcc_lo, s6
	s_delay_alu instid0(SALU_CYCLE_1)
	s_and_not1_b32 exec_lo, exec_lo, s6
	s_cbranch_execnz .LBB0_90
; %bb.91:
	s_or_b32 exec_lo, exec_lo, s6
.LBB0_92:
	s_delay_alu instid0(SALU_CYCLE_1)
	s_or_b32 exec_lo, exec_lo, s5
.LBB0_93:
	s_delay_alu instid0(SALU_CYCLE_1)
	s_or_b32 exec_lo, exec_lo, s4
	s_waitcnt vmcnt(0)
	v_mov_b32_e32 v2, 0
	v_readfirstlane_b32 s4, v8
	v_readfirstlane_b32 s5, v9
	s_mov_b32 s8, exec_lo
	s_waitcnt lgkmcnt(0)
	s_clause 0x1
	global_load_b64 v[10:11], v2, s[2:3] offset:40
	global_load_b128 v[4:7], v2, s[2:3]
	s_waitcnt vmcnt(1)
	v_readfirstlane_b32 s6, v10
	v_readfirstlane_b32 s7, v11
	s_delay_alu instid0(VALU_DEP_1) | instskip(NEXT) | instid1(SALU_CYCLE_1)
	s_and_b64 s[6:7], s[4:5], s[6:7]
	s_mul_i32 s9, s7, 24
	s_mul_hi_u32 s10, s6, 24
	s_mul_i32 s11, s6, 24
	s_add_i32 s10, s10, s9
	s_waitcnt vmcnt(0)
	v_add_co_u32 v8, vcc_lo, v4, s11
	v_add_co_ci_u32_e32 v9, vcc_lo, s10, v5, vcc_lo
	s_and_saveexec_b32 s9, s0
	s_cbranch_execz .LBB0_95
; %bb.94:
	v_dual_mov_b32 v10, s8 :: v_dual_mov_b32 v11, v2
	v_dual_mov_b32 v12, 2 :: v_dual_mov_b32 v13, 1
	global_store_b128 v[8:9], v[10:13], off offset:8
.LBB0_95:
	s_or_b32 exec_lo, exec_lo, s9
	s_lshl_b64 s[6:7], s[6:7], 12
	s_mov_b32 s8, 0
	v_add_co_u32 v6, vcc_lo, v6, s6
	v_add_co_ci_u32_e32 v7, vcc_lo, s7, v7, vcc_lo
	s_mov_b32 s11, s8
	s_mov_b32 s9, s8
	;; [unrolled: 1-line block ×3, first 2 shown]
	v_and_or_b32 v0, 0xffffff1f, v0, 32
	v_dual_mov_b32 v3, v2 :: v_dual_lshlrev_b32 v14, 6, v33
	v_readfirstlane_b32 s6, v6
	v_readfirstlane_b32 s7, v7
	v_dual_mov_b32 v13, s11 :: v_dual_mov_b32 v12, s10
	v_dual_mov_b32 v11, s9 :: v_dual_mov_b32 v10, s8
	s_clause 0x3
	global_store_b128 v14, v[0:3], s[6:7]
	global_store_b128 v14, v[10:13], s[6:7] offset:16
	global_store_b128 v14, v[10:13], s[6:7] offset:32
	;; [unrolled: 1-line block ×3, first 2 shown]
	s_and_saveexec_b32 s6, s0
	s_cbranch_execz .LBB0_102
; %bb.96:
	v_mov_b32_e32 v6, 0
	s_mov_b32 s7, exec_lo
	s_clause 0x1
	global_load_b64 v[12:13], v6, s[2:3] offset:32 glc
	global_load_b64 v[0:1], v6, s[2:3] offset:40
	v_dual_mov_b32 v11, s5 :: v_dual_mov_b32 v10, s4
	s_waitcnt vmcnt(0)
	v_and_b32_e32 v1, s5, v1
	v_and_b32_e32 v0, s4, v0
	s_delay_alu instid0(VALU_DEP_2) | instskip(NEXT) | instid1(VALU_DEP_2)
	v_mul_lo_u32 v1, v1, 24
	v_mul_hi_u32 v2, v0, 24
	v_mul_lo_u32 v0, v0, 24
	s_delay_alu instid0(VALU_DEP_2) | instskip(NEXT) | instid1(VALU_DEP_2)
	v_add_nc_u32_e32 v1, v2, v1
	v_add_co_u32 v4, vcc_lo, v4, v0
	s_delay_alu instid0(VALU_DEP_2)
	v_add_co_ci_u32_e32 v5, vcc_lo, v5, v1, vcc_lo
	global_store_b64 v[4:5], v[12:13], off
	s_waitcnt_vscnt null, 0x0
	global_atomic_cmpswap_b64 v[2:3], v6, v[10:13], s[2:3] offset:32 glc
	s_waitcnt vmcnt(0)
	v_cmpx_ne_u64_e64 v[2:3], v[12:13]
	s_cbranch_execz .LBB0_98
.LBB0_97:                               ; =>This Inner Loop Header: Depth=1
	v_dual_mov_b32 v0, s4 :: v_dual_mov_b32 v1, s5
	s_sleep 1
	global_store_b64 v[4:5], v[2:3], off
	s_waitcnt_vscnt null, 0x0
	global_atomic_cmpswap_b64 v[0:1], v6, v[0:3], s[2:3] offset:32 glc
	s_waitcnt vmcnt(0)
	v_cmp_eq_u64_e32 vcc_lo, v[0:1], v[2:3]
	v_dual_mov_b32 v3, v1 :: v_dual_mov_b32 v2, v0
	s_or_b32 s8, vcc_lo, s8
	s_delay_alu instid0(SALU_CYCLE_1)
	s_and_not1_b32 exec_lo, exec_lo, s8
	s_cbranch_execnz .LBB0_97
.LBB0_98:
	s_or_b32 exec_lo, exec_lo, s7
	v_mov_b32_e32 v3, 0
	s_mov_b32 s8, exec_lo
	s_mov_b32 s7, exec_lo
	v_mbcnt_lo_u32_b32 v2, s8, 0
	global_load_b64 v[0:1], v3, s[2:3] offset:16
	v_cmpx_eq_u32_e32 0, v2
	s_cbranch_execz .LBB0_100
; %bb.99:
	s_bcnt1_i32_b32 s8, s8
	s_delay_alu instid0(SALU_CYCLE_1)
	v_mov_b32_e32 v2, s8
	s_waitcnt vmcnt(0)
	global_atomic_add_u64 v[0:1], v[2:3], off offset:8
.LBB0_100:
	s_or_b32 exec_lo, exec_lo, s7
	s_waitcnt vmcnt(0)
	global_load_b64 v[2:3], v[0:1], off offset:16
	s_waitcnt vmcnt(0)
	v_cmp_eq_u64_e32 vcc_lo, 0, v[2:3]
	s_cbranch_vccnz .LBB0_102
; %bb.101:
	global_load_b32 v0, v[0:1], off offset:24
	s_waitcnt vmcnt(0)
	v_dual_mov_b32 v1, 0 :: v_dual_and_b32 v4, 0xffffff, v0
	s_waitcnt_vscnt null, 0x0
	global_store_b64 v[2:3], v[0:1], off
	v_readfirstlane_b32 m0, v4
	s_sendmsg sendmsg(MSG_INTERRUPT)
.LBB0_102:
	s_or_b32 exec_lo, exec_lo, s6
	s_branch .LBB0_106
	.p2align	6
.LBB0_103:                              ;   in Loop: Header=BB0_106 Depth=1
	s_or_b32 exec_lo, exec_lo, s6
	s_delay_alu instid0(VALU_DEP_1) | instskip(NEXT) | instid1(VALU_DEP_1)
	v_readfirstlane_b32 s6, v0
	s_cmp_eq_u32 s6, 0
	s_cbranch_scc1 .LBB0_105
; %bb.104:                              ;   in Loop: Header=BB0_106 Depth=1
	s_sleep 1
	s_cbranch_execnz .LBB0_106
	s_branch .LBB0_109
	.p2align	6
.LBB0_105:
	s_branch .LBB0_109
.LBB0_106:                              ; =>This Inner Loop Header: Depth=1
	v_mov_b32_e32 v0, 1
	s_and_saveexec_b32 s6, s0
	s_cbranch_execz .LBB0_103
; %bb.107:                              ;   in Loop: Header=BB0_106 Depth=1
	global_load_b32 v0, v[8:9], off offset:20 glc
	s_waitcnt vmcnt(0)
	buffer_gl1_inv
	buffer_gl0_inv
	v_and_b32_e32 v0, 1, v0
	s_branch .LBB0_103
.LBB0_108:
	s_or_b32 exec_lo, exec_lo, s1
	s_waitcnt vmcnt(0) lgkmcnt(0)
	s_setpc_b64 s[30:31]
.LBB0_109:
	s_and_saveexec_b32 s6, s0
	s_cbranch_execz .LBB0_113
; %bb.110:
	v_mov_b32_e32 v6, 0
	s_clause 0x2
	global_load_b64 v[2:3], v6, s[2:3] offset:40
	global_load_b64 v[7:8], v6, s[2:3] offset:24 glc
	global_load_b64 v[4:5], v6, s[2:3]
	s_waitcnt vmcnt(2)
	v_add_co_u32 v9, vcc_lo, v2, 1
	v_add_co_ci_u32_e32 v10, vcc_lo, 0, v3, vcc_lo
	s_delay_alu instid0(VALU_DEP_2) | instskip(NEXT) | instid1(VALU_DEP_2)
	v_add_co_u32 v0, vcc_lo, v9, s4
	v_add_co_ci_u32_e32 v1, vcc_lo, s5, v10, vcc_lo
	s_delay_alu instid0(VALU_DEP_1) | instskip(SKIP_1) | instid1(VALU_DEP_1)
	v_cmp_eq_u64_e32 vcc_lo, 0, v[0:1]
	v_dual_cndmask_b32 v1, v1, v10 :: v_dual_cndmask_b32 v0, v0, v9
	v_and_b32_e32 v3, v1, v3
	s_delay_alu instid0(VALU_DEP_2) | instskip(NEXT) | instid1(VALU_DEP_2)
	v_and_b32_e32 v2, v0, v2
	v_mul_lo_u32 v3, v3, 24
	s_delay_alu instid0(VALU_DEP_2) | instskip(SKIP_1) | instid1(VALU_DEP_2)
	v_mul_hi_u32 v9, v2, 24
	v_mul_lo_u32 v2, v2, 24
	v_add_nc_u32_e32 v3, v9, v3
	s_waitcnt vmcnt(0)
	s_delay_alu instid0(VALU_DEP_2) | instskip(SKIP_1) | instid1(VALU_DEP_3)
	v_add_co_u32 v4, vcc_lo, v4, v2
	v_mov_b32_e32 v2, v7
	v_add_co_ci_u32_e32 v5, vcc_lo, v5, v3, vcc_lo
	v_mov_b32_e32 v3, v8
	global_store_b64 v[4:5], v[7:8], off
	s_waitcnt_vscnt null, 0x0
	global_atomic_cmpswap_b64 v[2:3], v6, v[0:3], s[2:3] offset:24 glc
	s_waitcnt vmcnt(0)
	v_cmp_ne_u64_e32 vcc_lo, v[2:3], v[7:8]
	s_and_b32 exec_lo, exec_lo, vcc_lo
	s_cbranch_execz .LBB0_113
; %bb.111:
	s_mov_b32 s0, 0
.LBB0_112:                              ; =>This Inner Loop Header: Depth=1
	s_sleep 1
	global_store_b64 v[4:5], v[2:3], off
	s_waitcnt_vscnt null, 0x0
	global_atomic_cmpswap_b64 v[7:8], v6, v[0:3], s[2:3] offset:24 glc
	s_waitcnt vmcnt(0)
	v_cmp_eq_u64_e32 vcc_lo, v[7:8], v[2:3]
	v_dual_mov_b32 v2, v7 :: v_dual_mov_b32 v3, v8
	s_or_b32 s0, vcc_lo, s0
	s_delay_alu instid0(SALU_CYCLE_1)
	s_and_not1_b32 exec_lo, exec_lo, s0
	s_cbranch_execnz .LBB0_112
.LBB0_113:
	s_or_b32 exec_lo, exec_lo, s6
	s_delay_alu instid0(SALU_CYCLE_1)
	s_or_b32 exec_lo, exec_lo, s1
	s_waitcnt lgkmcnt(0)
	s_setpc_b64 s[30:31]
.Lfunc_end0:
	.size	__ockl_fprintf_append_string_n, .Lfunc_end0-__ockl_fprintf_append_string_n
                                        ; -- End function
	.section	.AMDGPU.csdata,"",@progbits
; Function info:
; codeLenInByte = 4740
; NumSgprs: 34
; NumVgprs: 36
; ScratchSize: 0
; MemoryBound: 0
	.text
	.p2align	2                               ; -- Begin function __assert_fail
	.type	__assert_fail,@function
__assert_fail:                          ; @__assert_fail
; %bb.0:
	s_waitcnt vmcnt(0) expcnt(0) lgkmcnt(0)
	s_mov_b32 s16, s33
	s_mov_b32 s33, s32
	s_or_saveexec_b32 s0, -1
	scratch_store_b32 off, v40, s33 offset:48 ; 4-byte Folded Spill
	s_mov_b32 exec_lo, s0
	v_writelane_b32 v40, s30, 0
	s_add_i32 s32, s32, 64
	v_writelane_b32 v40, s31, 1
	s_getpc_b64 s[0:1]
	s_add_u32 s0, s0, __const.__assert_fail.fmt@rel32@lo+4
	s_addc_u32 s1, s1, __const.__assert_fail.fmt@rel32@hi+12
	s_getpc_b64 s[2:3]
	s_add_u32 s2, s2, __const.__assert_fail.fmt@rel32@lo+20
	s_addc_u32 s3, s3, __const.__assert_fail.fmt@rel32@hi+28
	v_mbcnt_lo_u32_b32 v49, -1, 0
	s_clause 0x1
	s_load_b128 s[4:7], s[0:1], 0x0
	s_load_b128 s[12:15], s[2:3], 0x0
	s_load_b64 s[2:3], s[8:9], 0x50
	v_dual_mov_b32 v8, v1 :: v_dual_mov_b32 v7, v0
	v_dual_mov_b32 v9, 0 :: v_dual_mov_b32 v18, 0x73256020
	v_readfirstlane_b32 s0, v49
	v_mov_b32_e32 v21, 0xa2e
	v_mov_b32_e32 v19, 0x61662027
	;; [unrolled: 1-line block ×4, first 2 shown]
	v_cmp_eq_u32_e64 s0, s0, v49
	v_mov_b32_e32 v1, 0
	s_waitcnt lgkmcnt(0)
	v_mov_b32_e32 v13, s7
	v_mov_b32_e32 v17, s15
	v_dual_mov_b32 v15, s13 :: v_dual_mov_b32 v12, s6
	v_dual_mov_b32 v11, s5 :: v_dual_mov_b32 v14, s12
	v_mov_b32_e32 v10, s4
	v_mov_b32_e32 v16, s14
	s_clause 0x4
	scratch_store_b128 off, v[10:13], s33
	scratch_store_b128 off, v[14:17], s33 offset:16
	scratch_store_b8 off, v9, s33 offset:46
	scratch_store_b16 off, v21, s33 offset:44
	scratch_store_b96 off, v[18:20], s33 offset:32
	s_and_saveexec_b32 s1, s0
	s_cbranch_execz .LBB1_6
; %bb.1:
	global_load_b64 v[12:13], v9, s[2:3] offset:24 glc
	s_waitcnt vmcnt(0)
	buffer_gl1_inv
	buffer_gl0_inv
	s_clause 0x1
	global_load_b64 v[0:1], v9, s[2:3] offset:40
	global_load_b64 v[10:11], v9, s[2:3]
	s_mov_b32 s4, exec_lo
	s_waitcnt vmcnt(1)
	v_and_b32_e32 v1, v1, v13
	v_and_b32_e32 v0, v0, v12
	s_delay_alu instid0(VALU_DEP_2) | instskip(NEXT) | instid1(VALU_DEP_2)
	v_mul_lo_u32 v1, v1, 24
	v_mul_hi_u32 v14, v0, 24
	v_mul_lo_u32 v0, v0, 24
	s_delay_alu instid0(VALU_DEP_2) | instskip(SKIP_1) | instid1(VALU_DEP_2)
	v_add_nc_u32_e32 v1, v14, v1
	s_waitcnt vmcnt(0)
	v_add_co_u32 v0, vcc_lo, v10, v0
	s_delay_alu instid0(VALU_DEP_2)
	v_add_co_ci_u32_e32 v1, vcc_lo, v11, v1, vcc_lo
	global_load_b64 v[10:11], v[0:1], off glc
	s_waitcnt vmcnt(0)
	global_atomic_cmpswap_b64 v[0:1], v9, v[10:13], s[2:3] offset:24 glc
	s_waitcnt vmcnt(0)
	buffer_gl1_inv
	buffer_gl0_inv
	v_cmpx_ne_u64_e64 v[0:1], v[12:13]
	s_cbranch_execz .LBB1_5
; %bb.2:
	s_mov_b32 s5, 0
	.p2align	6
.LBB1_3:                                ; =>This Inner Loop Header: Depth=1
	s_sleep 1
	s_clause 0x1
	global_load_b64 v[10:11], v9, s[2:3] offset:40
	global_load_b64 v[14:15], v9, s[2:3]
	v_dual_mov_b32 v13, v1 :: v_dual_mov_b32 v12, v0
	s_waitcnt vmcnt(1)
	s_delay_alu instid0(VALU_DEP_1) | instskip(SKIP_1) | instid1(VALU_DEP_1)
	v_and_b32_e32 v10, v10, v12
	s_waitcnt vmcnt(0)
	v_mad_u64_u32 v[0:1], null, v10, 24, v[14:15]
	v_and_b32_e32 v14, v11, v13
	s_delay_alu instid0(VALU_DEP_1) | instskip(NEXT) | instid1(VALU_DEP_1)
	v_mad_u64_u32 v[10:11], null, v14, 24, v[1:2]
	v_mov_b32_e32 v1, v10
	global_load_b64 v[10:11], v[0:1], off glc
	s_waitcnt vmcnt(0)
	global_atomic_cmpswap_b64 v[0:1], v9, v[10:13], s[2:3] offset:24 glc
	s_waitcnt vmcnt(0)
	buffer_gl1_inv
	buffer_gl0_inv
	v_cmp_eq_u64_e32 vcc_lo, v[0:1], v[12:13]
	s_or_b32 s5, vcc_lo, s5
	s_delay_alu instid0(SALU_CYCLE_1)
	s_and_not1_b32 exec_lo, exec_lo, s5
	s_cbranch_execnz .LBB1_3
; %bb.4:
	s_or_b32 exec_lo, exec_lo, s5
.LBB1_5:
	s_delay_alu instid0(SALU_CYCLE_1)
	s_or_b32 exec_lo, exec_lo, s4
.LBB1_6:
	s_delay_alu instid0(SALU_CYCLE_1)
	s_or_b32 exec_lo, exec_lo, s1
	s_clause 0x1
	global_load_b64 v[10:11], v9, s[2:3] offset:40
	global_load_b128 v[13:16], v9, s[2:3]
	v_readfirstlane_b32 s4, v0
	v_readfirstlane_b32 s5, v1
	s_mov_b32 s1, exec_lo
	s_waitcnt vmcnt(1)
	v_readfirstlane_b32 s6, v10
	v_readfirstlane_b32 s7, v11
	s_delay_alu instid0(VALU_DEP_1) | instskip(NEXT) | instid1(SALU_CYCLE_1)
	s_and_b64 s[6:7], s[4:5], s[6:7]
	s_mul_i32 s10, s7, 24
	s_mul_hi_u32 s11, s6, 24
	s_mul_i32 s12, s6, 24
	s_add_i32 s11, s11, s10
	s_waitcnt vmcnt(0)
	v_add_co_u32 v0, vcc_lo, v13, s12
	v_add_co_ci_u32_e32 v1, vcc_lo, s11, v14, vcc_lo
	s_and_saveexec_b32 s10, s0
	s_cbranch_execz .LBB1_8
; %bb.7:
	v_dual_mov_b32 v9, s1 :: v_dual_mov_b32 v10, 0
	v_dual_mov_b32 v11, 2 :: v_dual_mov_b32 v12, 1
	global_store_b128 v[0:1], v[9:12], off offset:8
.LBB1_8:
	s_or_b32 exec_lo, exec_lo, s10
	s_lshl_b64 s[6:7], s[6:7], 12
	v_dual_mov_b32 v11, 1 :: v_dual_lshlrev_b32 v48, 6, v49
	v_add_co_u32 v15, vcc_lo, v15, s6
	v_add_co_ci_u32_e32 v16, vcc_lo, s7, v16, vcc_lo
	v_dual_mov_b32 v10, 0 :: v_dual_mov_b32 v9, 33
	s_mov_b32 s12, 0
	s_delay_alu instid0(VALU_DEP_3)
	v_readfirstlane_b32 s6, v15
	s_mov_b32 s15, s12
	v_add_co_u32 v15, vcc_lo, v15, v48
	s_mov_b32 s13, s12
	s_mov_b32 s14, s12
	v_mov_b32_e32 v12, v10
	v_readfirstlane_b32 s7, v16
	v_dual_mov_b32 v20, s15 :: v_dual_mov_b32 v17, s12
	v_add_co_ci_u32_e32 v16, vcc_lo, 0, v16, vcc_lo
	v_dual_mov_b32 v19, s14 :: v_dual_mov_b32 v18, s13
	s_clause 0x3
	global_store_b128 v48, v[9:12], s[6:7]
	global_store_b128 v48, v[17:20], s[6:7] offset:16
	global_store_b128 v48, v[17:20], s[6:7] offset:32
	;; [unrolled: 1-line block ×3, first 2 shown]
	s_and_saveexec_b32 s1, s0
	s_cbranch_execz .LBB1_16
; %bb.9:
	s_clause 0x1
	global_load_b64 v[21:22], v10, s[2:3] offset:32 glc
	global_load_b64 v[11:12], v10, s[2:3] offset:40
	v_mov_b32_e32 v19, s4
	s_mov_b32 s6, exec_lo
	s_waitcnt vmcnt(0)
	v_dual_mov_b32 v20, s5 :: v_dual_and_b32 v9, s5, v12
	v_and_b32_e32 v11, s4, v11
	s_delay_alu instid0(VALU_DEP_2) | instskip(NEXT) | instid1(VALU_DEP_2)
	v_mul_lo_u32 v9, v9, 24
	v_mul_hi_u32 v12, v11, 24
	v_mul_lo_u32 v11, v11, 24
	s_delay_alu instid0(VALU_DEP_2) | instskip(NEXT) | instid1(VALU_DEP_2)
	v_add_nc_u32_e32 v9, v12, v9
	v_add_co_u32 v17, vcc_lo, v13, v11
	s_delay_alu instid0(VALU_DEP_2)
	v_add_co_ci_u32_e32 v18, vcc_lo, v14, v9, vcc_lo
	global_store_b64 v[17:18], v[21:22], off
	s_waitcnt_vscnt null, 0x0
	global_atomic_cmpswap_b64 v[13:14], v10, v[19:22], s[2:3] offset:32 glc
	s_waitcnt vmcnt(0)
	v_cmpx_ne_u64_e64 v[13:14], v[21:22]
	s_cbranch_execz .LBB1_12
; %bb.10:
	s_mov_b32 s7, 0
.LBB1_11:                               ; =>This Inner Loop Header: Depth=1
	v_dual_mov_b32 v11, s4 :: v_dual_mov_b32 v12, s5
	s_sleep 1
	global_store_b64 v[17:18], v[13:14], off
	s_waitcnt_vscnt null, 0x0
	global_atomic_cmpswap_b64 v[11:12], v10, v[11:14], s[2:3] offset:32 glc
	s_waitcnt vmcnt(0)
	v_cmp_eq_u64_e32 vcc_lo, v[11:12], v[13:14]
	v_dual_mov_b32 v14, v12 :: v_dual_mov_b32 v13, v11
	s_or_b32 s7, vcc_lo, s7
	s_delay_alu instid0(SALU_CYCLE_1)
	s_and_not1_b32 exec_lo, exec_lo, s7
	s_cbranch_execnz .LBB1_11
.LBB1_12:
	s_or_b32 exec_lo, exec_lo, s6
	v_mov_b32_e32 v12, 0
	s_mov_b32 s7, exec_lo
	s_mov_b32 s6, exec_lo
	v_mbcnt_lo_u32_b32 v11, s7, 0
	global_load_b64 v[9:10], v12, s[2:3] offset:16
	v_cmpx_eq_u32_e32 0, v11
	s_cbranch_execz .LBB1_14
; %bb.13:
	s_bcnt1_i32_b32 s7, s7
	s_delay_alu instid0(SALU_CYCLE_1)
	v_mov_b32_e32 v11, s7
	s_waitcnt vmcnt(0)
	global_atomic_add_u64 v[9:10], v[11:12], off offset:8
.LBB1_14:
	s_or_b32 exec_lo, exec_lo, s6
	s_waitcnt vmcnt(0)
	global_load_b64 v[11:12], v[9:10], off offset:16
	s_waitcnt vmcnt(0)
	v_cmp_eq_u64_e32 vcc_lo, 0, v[11:12]
	s_cbranch_vccnz .LBB1_16
; %bb.15:
	global_load_b32 v9, v[9:10], off offset:24
	s_waitcnt vmcnt(0)
	v_dual_mov_b32 v10, 0 :: v_dual_and_b32 v13, 0xffffff, v9
	s_waitcnt_vscnt null, 0x0
	global_store_b64 v[11:12], v[9:10], off
	v_readfirstlane_b32 m0, v13
	s_sendmsg sendmsg(MSG_INTERRUPT)
.LBB1_16:
	s_or_b32 exec_lo, exec_lo, s1
	s_branch .LBB1_20
	.p2align	6
.LBB1_17:                               ;   in Loop: Header=BB1_20 Depth=1
	s_or_b32 exec_lo, exec_lo, s1
	s_delay_alu instid0(VALU_DEP_1) | instskip(NEXT) | instid1(VALU_DEP_1)
	v_readfirstlane_b32 s1, v9
	s_cmp_eq_u32 s1, 0
	s_cbranch_scc1 .LBB1_19
; %bb.18:                               ;   in Loop: Header=BB1_20 Depth=1
	s_sleep 1
	s_cbranch_execnz .LBB1_20
	s_branch .LBB1_22
	.p2align	6
.LBB1_19:
	s_branch .LBB1_22
.LBB1_20:                               ; =>This Inner Loop Header: Depth=1
	v_mov_b32_e32 v9, 1
	s_and_saveexec_b32 s1, s0
	s_cbranch_execz .LBB1_17
; %bb.21:                               ;   in Loop: Header=BB1_20 Depth=1
	global_load_b32 v9, v[0:1], off offset:20 glc
	s_waitcnt vmcnt(0)
	buffer_gl1_inv
	buffer_gl0_inv
	v_and_b32_e32 v9, 1, v9
	s_branch .LBB1_17
.LBB1_22:
	global_load_b64 v[13:14], v[15:16], off
	s_and_saveexec_b32 s1, s0
	s_cbranch_execz .LBB1_26
; %bb.23:
	v_mov_b32_e32 v15, 0
	s_clause 0x2
	global_load_b64 v[0:1], v15, s[2:3] offset:40
	global_load_b64 v[16:17], v15, s[2:3] offset:24 glc
	global_load_b64 v[11:12], v15, s[2:3]
	s_waitcnt vmcnt(2)
	v_add_co_u32 v18, vcc_lo, v0, 1
	v_add_co_ci_u32_e32 v19, vcc_lo, 0, v1, vcc_lo
	s_delay_alu instid0(VALU_DEP_2) | instskip(NEXT) | instid1(VALU_DEP_2)
	v_add_co_u32 v9, vcc_lo, v18, s4
	v_add_co_ci_u32_e32 v10, vcc_lo, s5, v19, vcc_lo
	s_delay_alu instid0(VALU_DEP_1) | instskip(SKIP_1) | instid1(VALU_DEP_1)
	v_cmp_eq_u64_e32 vcc_lo, 0, v[9:10]
	v_dual_cndmask_b32 v10, v10, v19 :: v_dual_cndmask_b32 v9, v9, v18
	v_and_b32_e32 v1, v10, v1
	s_delay_alu instid0(VALU_DEP_2) | instskip(NEXT) | instid1(VALU_DEP_2)
	v_and_b32_e32 v0, v9, v0
	v_mul_lo_u32 v1, v1, 24
	s_delay_alu instid0(VALU_DEP_2) | instskip(SKIP_1) | instid1(VALU_DEP_2)
	v_mul_hi_u32 v18, v0, 24
	v_mul_lo_u32 v0, v0, 24
	v_add_nc_u32_e32 v1, v18, v1
	s_waitcnt vmcnt(0)
	s_delay_alu instid0(VALU_DEP_2) | instskip(SKIP_1) | instid1(VALU_DEP_3)
	v_add_co_u32 v0, vcc_lo, v11, v0
	v_mov_b32_e32 v11, v16
	v_add_co_ci_u32_e32 v1, vcc_lo, v12, v1, vcc_lo
	v_mov_b32_e32 v12, v17
	global_store_b64 v[0:1], v[16:17], off
	s_waitcnt_vscnt null, 0x0
	global_atomic_cmpswap_b64 v[11:12], v15, v[9:12], s[2:3] offset:24 glc
	s_waitcnt vmcnt(0)
	v_cmp_ne_u64_e32 vcc_lo, v[11:12], v[16:17]
	s_and_b32 exec_lo, exec_lo, vcc_lo
	s_cbranch_execz .LBB1_26
; %bb.24:
	s_mov_b32 s0, 0
.LBB1_25:                               ; =>This Inner Loop Header: Depth=1
	s_sleep 1
	global_store_b64 v[0:1], v[11:12], off
	s_waitcnt_vscnt null, 0x0
	global_atomic_cmpswap_b64 v[16:17], v15, v[9:12], s[2:3] offset:24 glc
	s_waitcnt vmcnt(0)
	v_cmp_eq_u64_e32 vcc_lo, v[16:17], v[11:12]
	v_dual_mov_b32 v11, v16 :: v_dual_mov_b32 v12, v17
	s_or_b32 s0, vcc_lo, s0
	s_delay_alu instid0(SALU_CYCLE_1)
	s_and_not1_b32 exec_lo, exec_lo, s0
	s_cbranch_execnz .LBB1_25
.LBB1_26:
	s_or_b32 exec_lo, exec_lo, s1
	v_mov_b32_e32 v1, s33
	s_mov_b32 s0, 0
.LBB1_27:                               ; =>This Inner Loop Header: Depth=1
	scratch_load_u8 v9, v1, off
	v_add_nc_u32_e32 v0, 1, v1
	s_delay_alu instid0(VALU_DEP_1) | instskip(SKIP_3) | instid1(SALU_CYCLE_1)
	v_mov_b32_e32 v1, v0
	s_waitcnt vmcnt(0)
	v_cmp_eq_u16_e32 vcc_lo, 0, v9
	s_or_b32 s0, vcc_lo, s0
	s_and_not1_b32 exec_lo, exec_lo, s0
	s_cbranch_execnz .LBB1_27
; %bb.28:
	s_or_b32 exec_lo, exec_lo, s0
	v_cmp_ne_u32_e64 s0, -1, s33
	s_delay_alu instid0(VALU_DEP_1)
	s_and_b32 vcc_lo, exec_lo, s0
	s_cbranch_vccz .LBB1_113
; %bb.29:
	v_subrev_nc_u32_e32 v0, s33, v0
	v_dual_mov_b32 v16, 0 :: v_dual_and_b32 v39, 2, v13
	v_dual_mov_b32 v10, v14 :: v_dual_and_b32 v9, -3, v13
	s_delay_alu instid0(VALU_DEP_3)
	v_ashrrev_i32_e32 v1, 31, v0
	v_dual_mov_b32 v50, s33 :: v_dual_mov_b32 v17, 2
	v_mov_b32_e32 v18, 1
	s_mov_b32 s11, 0
	s_mov_b32 s10, 0
	s_branch .LBB1_31
.LBB1_30:                               ;   in Loop: Header=BB1_31 Depth=1
	s_or_b32 exec_lo, exec_lo, s1
	v_sub_co_u32 v0, vcc_lo, v0, v35
	v_sub_co_ci_u32_e32 v1, vcc_lo, v1, v36, vcc_lo
	v_add_nc_u32_e32 v50, v50, v35
	s_delay_alu instid0(VALU_DEP_2) | instskip(SKIP_1) | instid1(SALU_CYCLE_1)
	v_cmp_eq_u64_e32 vcc_lo, 0, v[0:1]
	s_or_b32 s10, vcc_lo, s10
	s_and_not1_b32 exec_lo, exec_lo, s10
	s_cbranch_execz .LBB1_114
.LBB1_31:                               ; =>This Loop Header: Depth=1
                                        ;     Child Loop BB1_34 Depth 2
                                        ;     Child Loop BB1_42 Depth 2
                                        ;     Child Loop BB1_50 Depth 2
                                        ;     Child Loop BB1_58 Depth 2
                                        ;     Child Loop BB1_66 Depth 2
                                        ;     Child Loop BB1_74 Depth 2
                                        ;     Child Loop BB1_82 Depth 2
                                        ;     Child Loop BB1_90 Depth 2
                                        ;     Child Loop BB1_98 Depth 2
                                        ;     Child Loop BB1_107 Depth 2
                                        ;     Child Loop BB1_112 Depth 2
	v_cmp_gt_u64_e32 vcc_lo, 56, v[0:1]
	s_mov_b32 s4, exec_lo
                                        ; implicit-def: $vgpr11_vgpr12
                                        ; implicit-def: $sgpr1
	v_dual_cndmask_b32 v36, 0, v1 :: v_dual_cndmask_b32 v35, 56, v0
	v_cmpx_gt_u64_e32 8, v[0:1]
	s_xor_b32 s4, exec_lo, s4
	s_cbranch_execz .LBB1_37
; %bb.32:                               ;   in Loop: Header=BB1_31 Depth=1
	s_waitcnt vmcnt(0)
	v_mov_b32_e32 v11, 0
	v_mov_b32_e32 v12, 0
	s_mov_b64 s[0:1], 0
	s_mov_b32 s5, exec_lo
	v_cmpx_ne_u64_e32 0, v[0:1]
	s_cbranch_execz .LBB1_36
; %bb.33:                               ;   in Loop: Header=BB1_31 Depth=1
	v_lshlrev_b64 v[19:20], 3, v[35:36]
	v_mov_b32_e32 v11, 0
	v_dual_mov_b32 v12, 0 :: v_dual_mov_b32 v15, v50
	s_mov_b32 s6, 0
.LBB1_34:                               ;   Parent Loop BB1_31 Depth=1
                                        ; =>  This Inner Loop Header: Depth=2
	scratch_load_u8 v20, v15, off
	v_mov_b32_e32 v21, s11
	v_add_nc_u32_e32 v15, 1, v15
	s_waitcnt vmcnt(0)
	v_and_b32_e32 v20, 0xffff, v20
	s_delay_alu instid0(VALU_DEP_1) | instskip(SKIP_3) | instid1(VALU_DEP_2)
	v_lshlrev_b64 v[20:21], s0, v[20:21]
	s_add_u32 s0, s0, 8
	s_addc_u32 s1, s1, 0
	v_cmp_eq_u32_e32 vcc_lo, s0, v19
	v_or_b32_e32 v12, v21, v12
	s_delay_alu instid0(VALU_DEP_3) | instskip(SKIP_1) | instid1(SALU_CYCLE_1)
	v_or_b32_e32 v11, v20, v11
	s_or_b32 s6, vcc_lo, s6
	s_and_not1_b32 exec_lo, exec_lo, s6
	s_cbranch_execnz .LBB1_34
; %bb.35:                               ;   in Loop: Header=BB1_31 Depth=1
	s_or_b32 exec_lo, exec_lo, s6
.LBB1_36:                               ;   in Loop: Header=BB1_31 Depth=1
	s_delay_alu instid0(SALU_CYCLE_1)
	s_or_b32 exec_lo, exec_lo, s5
	s_mov_b32 s1, 0
.LBB1_37:                               ;   in Loop: Header=BB1_31 Depth=1
	s_or_saveexec_b32 s0, s4
	v_mov_b32_e32 v21, s1
	v_mov_b32_e32 v15, v50
	s_xor_b32 exec_lo, exec_lo, s0
	s_cbranch_execz .LBB1_39
; %bb.38:                               ;   in Loop: Header=BB1_31 Depth=1
	scratch_load_b64 v[11:12], v50, off
	v_add_nc_u32_e32 v21, -8, v35
	s_waitcnt vmcnt(0)
	v_and_b32_e32 v15, 0xff, v12
	v_and_b32_e32 v19, 0xff00, v12
	v_and_b32_e32 v20, 0xff0000, v12
	v_and_b32_e32 v12, 0xff000000, v12
	v_or3_b32 v11, v11, 0, 0
	s_delay_alu instid0(VALU_DEP_4) | instskip(NEXT) | instid1(VALU_DEP_1)
	v_or_b32_e32 v15, v15, v19
	v_or3_b32 v12, v15, v20, v12
	v_add_nc_u32_e32 v15, 8, v50
.LBB1_39:                               ;   in Loop: Header=BB1_31 Depth=1
	s_or_b32 exec_lo, exec_lo, s0
                                        ; implicit-def: $vgpr19_vgpr20
                                        ; implicit-def: $sgpr1
	s_delay_alu instid0(SALU_CYCLE_1)
	s_mov_b32 s0, exec_lo
	v_cmpx_gt_u32_e32 8, v21
	s_xor_b32 s4, exec_lo, s0
	s_cbranch_execz .LBB1_45
; %bb.40:                               ;   in Loop: Header=BB1_31 Depth=1
	v_mov_b32_e32 v19, 0
	v_mov_b32_e32 v20, 0
	s_mov_b32 s5, exec_lo
	v_cmpx_ne_u32_e32 0, v21
	s_cbranch_execz .LBB1_44
; %bb.41:                               ;   in Loop: Header=BB1_31 Depth=1
	v_mov_b32_e32 v19, 0
	v_mov_b32_e32 v20, 0
	s_mov_b64 s[0:1], 0
	s_mov_b32 s6, 0
	s_mov_b32 s7, 0
	.p2align	6
.LBB1_42:                               ;   Parent Loop BB1_31 Depth=1
                                        ; =>  This Inner Loop Header: Depth=2
	s_delay_alu instid0(SALU_CYCLE_1) | instskip(SKIP_1) | instid1(SALU_CYCLE_1)
	v_dual_mov_b32 v23, s11 :: v_dual_add_nc_u32 v22, s7, v15
	s_add_i32 s7, s7, 1
	v_cmp_eq_u32_e32 vcc_lo, s7, v21
	scratch_load_u8 v22, v22, off
	s_waitcnt vmcnt(0)
	v_and_b32_e32 v22, 0xffff, v22
	s_delay_alu instid0(VALU_DEP_1) | instskip(SKIP_3) | instid1(VALU_DEP_1)
	v_lshlrev_b64 v[22:23], s0, v[22:23]
	s_add_u32 s0, s0, 8
	s_addc_u32 s1, s1, 0
	s_or_b32 s6, vcc_lo, s6
	v_or_b32_e32 v20, v23, v20
	s_delay_alu instid0(VALU_DEP_2)
	v_or_b32_e32 v19, v22, v19
	s_and_not1_b32 exec_lo, exec_lo, s6
	s_cbranch_execnz .LBB1_42
; %bb.43:                               ;   in Loop: Header=BB1_31 Depth=1
	s_or_b32 exec_lo, exec_lo, s6
.LBB1_44:                               ;   in Loop: Header=BB1_31 Depth=1
	s_delay_alu instid0(SALU_CYCLE_1)
	s_or_b32 exec_lo, exec_lo, s5
	s_mov_b32 s1, 0
                                        ; implicit-def: $vgpr21
.LBB1_45:                               ;   in Loop: Header=BB1_31 Depth=1
	s_or_saveexec_b32 s0, s4
	v_mov_b32_e32 v23, s1
	s_xor_b32 exec_lo, exec_lo, s0
	s_cbranch_execz .LBB1_47
; %bb.46:                               ;   in Loop: Header=BB1_31 Depth=1
	scratch_load_b64 v[19:20], v15, off
	v_add_nc_u32_e32 v15, 8, v15
	s_waitcnt vmcnt(0)
	v_and_b32_e32 v22, 0xff, v20
	v_and_b32_e32 v23, 0xff00, v20
	;; [unrolled: 1-line block ×4, first 2 shown]
	v_or3_b32 v19, v19, 0, 0
	s_delay_alu instid0(VALU_DEP_4) | instskip(SKIP_1) | instid1(VALU_DEP_2)
	v_or_b32_e32 v22, v22, v23
	v_add_nc_u32_e32 v23, -8, v21
	v_or3_b32 v20, v22, v24, v20
.LBB1_47:                               ;   in Loop: Header=BB1_31 Depth=1
	s_or_b32 exec_lo, exec_lo, s0
                                        ; implicit-def: $sgpr1
	s_delay_alu instid0(SALU_CYCLE_1) | instskip(NEXT) | instid1(VALU_DEP_1)
	s_mov_b32 s0, exec_lo
	v_cmpx_gt_u32_e32 8, v23
	s_xor_b32 s4, exec_lo, s0
	s_cbranch_execz .LBB1_53
; %bb.48:                               ;   in Loop: Header=BB1_31 Depth=1
	v_mov_b32_e32 v21, 0
	v_mov_b32_e32 v22, 0
	s_mov_b32 s5, exec_lo
	v_cmpx_ne_u32_e32 0, v23
	s_cbranch_execz .LBB1_52
; %bb.49:                               ;   in Loop: Header=BB1_31 Depth=1
	v_mov_b32_e32 v21, 0
	v_mov_b32_e32 v22, 0
	s_mov_b64 s[0:1], 0
	s_mov_b32 s6, 0
	s_mov_b32 s7, 0
	.p2align	6
.LBB1_50:                               ;   Parent Loop BB1_31 Depth=1
                                        ; =>  This Inner Loop Header: Depth=2
	s_delay_alu instid0(SALU_CYCLE_1) | instskip(SKIP_1) | instid1(SALU_CYCLE_1)
	v_dual_mov_b32 v25, s11 :: v_dual_add_nc_u32 v24, s7, v15
	s_add_i32 s7, s7, 1
	v_cmp_eq_u32_e32 vcc_lo, s7, v23
	scratch_load_u8 v24, v24, off
	s_waitcnt vmcnt(0)
	v_and_b32_e32 v24, 0xffff, v24
	s_delay_alu instid0(VALU_DEP_1) | instskip(SKIP_3) | instid1(VALU_DEP_1)
	v_lshlrev_b64 v[24:25], s0, v[24:25]
	s_add_u32 s0, s0, 8
	s_addc_u32 s1, s1, 0
	s_or_b32 s6, vcc_lo, s6
	v_or_b32_e32 v22, v25, v22
	s_delay_alu instid0(VALU_DEP_2)
	v_or_b32_e32 v21, v24, v21
	s_and_not1_b32 exec_lo, exec_lo, s6
	s_cbranch_execnz .LBB1_50
; %bb.51:                               ;   in Loop: Header=BB1_31 Depth=1
	s_or_b32 exec_lo, exec_lo, s6
.LBB1_52:                               ;   in Loop: Header=BB1_31 Depth=1
	s_delay_alu instid0(SALU_CYCLE_1)
	s_or_b32 exec_lo, exec_lo, s5
	s_mov_b32 s1, 0
                                        ; implicit-def: $vgpr23
.LBB1_53:                               ;   in Loop: Header=BB1_31 Depth=1
	s_or_saveexec_b32 s0, s4
	v_mov_b32_e32 v25, s1
	s_xor_b32 exec_lo, exec_lo, s0
	s_cbranch_execz .LBB1_55
; %bb.54:                               ;   in Loop: Header=BB1_31 Depth=1
	scratch_load_b64 v[21:22], v15, off
	v_add_nc_u32_e32 v15, 8, v15
	s_waitcnt vmcnt(0)
	v_and_b32_e32 v24, 0xff, v22
	v_and_b32_e32 v25, 0xff00, v22
	;; [unrolled: 1-line block ×4, first 2 shown]
	v_or3_b32 v21, v21, 0, 0
	s_delay_alu instid0(VALU_DEP_4) | instskip(SKIP_1) | instid1(VALU_DEP_2)
	v_or_b32_e32 v24, v24, v25
	v_add_nc_u32_e32 v25, -8, v23
	v_or3_b32 v22, v24, v26, v22
.LBB1_55:                               ;   in Loop: Header=BB1_31 Depth=1
	s_or_b32 exec_lo, exec_lo, s0
                                        ; implicit-def: $vgpr23_vgpr24
                                        ; implicit-def: $sgpr1
	s_delay_alu instid0(SALU_CYCLE_1) | instskip(NEXT) | instid1(VALU_DEP_1)
	s_mov_b32 s0, exec_lo
	v_cmpx_gt_u32_e32 8, v25
	s_xor_b32 s4, exec_lo, s0
	s_cbranch_execz .LBB1_61
; %bb.56:                               ;   in Loop: Header=BB1_31 Depth=1
	v_mov_b32_e32 v23, 0
	v_mov_b32_e32 v24, 0
	s_mov_b32 s5, exec_lo
	v_cmpx_ne_u32_e32 0, v25
	s_cbranch_execz .LBB1_60
; %bb.57:                               ;   in Loop: Header=BB1_31 Depth=1
	v_mov_b32_e32 v23, 0
	v_mov_b32_e32 v24, 0
	s_mov_b64 s[0:1], 0
	s_mov_b32 s6, 0
	s_mov_b32 s7, 0
	.p2align	6
.LBB1_58:                               ;   Parent Loop BB1_31 Depth=1
                                        ; =>  This Inner Loop Header: Depth=2
	s_delay_alu instid0(SALU_CYCLE_1) | instskip(SKIP_1) | instid1(SALU_CYCLE_1)
	v_dual_mov_b32 v27, s11 :: v_dual_add_nc_u32 v26, s7, v15
	s_add_i32 s7, s7, 1
	v_cmp_eq_u32_e32 vcc_lo, s7, v25
	scratch_load_u8 v26, v26, off
	s_waitcnt vmcnt(0)
	v_and_b32_e32 v26, 0xffff, v26
	s_delay_alu instid0(VALU_DEP_1) | instskip(SKIP_3) | instid1(VALU_DEP_1)
	v_lshlrev_b64 v[26:27], s0, v[26:27]
	s_add_u32 s0, s0, 8
	s_addc_u32 s1, s1, 0
	s_or_b32 s6, vcc_lo, s6
	v_or_b32_e32 v24, v27, v24
	s_delay_alu instid0(VALU_DEP_2)
	v_or_b32_e32 v23, v26, v23
	s_and_not1_b32 exec_lo, exec_lo, s6
	s_cbranch_execnz .LBB1_58
; %bb.59:                               ;   in Loop: Header=BB1_31 Depth=1
	s_or_b32 exec_lo, exec_lo, s6
.LBB1_60:                               ;   in Loop: Header=BB1_31 Depth=1
	s_delay_alu instid0(SALU_CYCLE_1)
	s_or_b32 exec_lo, exec_lo, s5
	s_mov_b32 s1, 0
                                        ; implicit-def: $vgpr25
.LBB1_61:                               ;   in Loop: Header=BB1_31 Depth=1
	s_or_saveexec_b32 s0, s4
	v_mov_b32_e32 v27, s1
	s_xor_b32 exec_lo, exec_lo, s0
	s_cbranch_execz .LBB1_63
; %bb.62:                               ;   in Loop: Header=BB1_31 Depth=1
	scratch_load_b64 v[23:24], v15, off
	v_add_nc_u32_e32 v15, 8, v15
	s_waitcnt vmcnt(0)
	v_and_b32_e32 v26, 0xff, v24
	v_and_b32_e32 v27, 0xff00, v24
	;; [unrolled: 1-line block ×4, first 2 shown]
	v_or3_b32 v23, v23, 0, 0
	s_delay_alu instid0(VALU_DEP_4) | instskip(SKIP_1) | instid1(VALU_DEP_2)
	v_or_b32_e32 v26, v26, v27
	v_add_nc_u32_e32 v27, -8, v25
	v_or3_b32 v24, v26, v28, v24
.LBB1_63:                               ;   in Loop: Header=BB1_31 Depth=1
	s_or_b32 exec_lo, exec_lo, s0
                                        ; implicit-def: $sgpr1
	s_delay_alu instid0(SALU_CYCLE_1) | instskip(NEXT) | instid1(VALU_DEP_1)
	s_mov_b32 s0, exec_lo
	v_cmpx_gt_u32_e32 8, v27
	s_xor_b32 s4, exec_lo, s0
	s_cbranch_execz .LBB1_69
; %bb.64:                               ;   in Loop: Header=BB1_31 Depth=1
	v_mov_b32_e32 v25, 0
	v_mov_b32_e32 v26, 0
	s_mov_b32 s5, exec_lo
	v_cmpx_ne_u32_e32 0, v27
	s_cbranch_execz .LBB1_68
; %bb.65:                               ;   in Loop: Header=BB1_31 Depth=1
	v_mov_b32_e32 v25, 0
	v_mov_b32_e32 v26, 0
	s_mov_b64 s[0:1], 0
	s_mov_b32 s6, 0
	s_mov_b32 s7, 0
	.p2align	6
.LBB1_66:                               ;   Parent Loop BB1_31 Depth=1
                                        ; =>  This Inner Loop Header: Depth=2
	s_delay_alu instid0(SALU_CYCLE_1) | instskip(SKIP_1) | instid1(SALU_CYCLE_1)
	v_dual_mov_b32 v29, s11 :: v_dual_add_nc_u32 v28, s7, v15
	s_add_i32 s7, s7, 1
	v_cmp_eq_u32_e32 vcc_lo, s7, v27
	scratch_load_u8 v28, v28, off
	s_waitcnt vmcnt(0)
	v_and_b32_e32 v28, 0xffff, v28
	s_delay_alu instid0(VALU_DEP_1) | instskip(SKIP_3) | instid1(VALU_DEP_1)
	v_lshlrev_b64 v[28:29], s0, v[28:29]
	s_add_u32 s0, s0, 8
	s_addc_u32 s1, s1, 0
	s_or_b32 s6, vcc_lo, s6
	v_or_b32_e32 v26, v29, v26
	s_delay_alu instid0(VALU_DEP_2)
	v_or_b32_e32 v25, v28, v25
	s_and_not1_b32 exec_lo, exec_lo, s6
	s_cbranch_execnz .LBB1_66
; %bb.67:                               ;   in Loop: Header=BB1_31 Depth=1
	s_or_b32 exec_lo, exec_lo, s6
.LBB1_68:                               ;   in Loop: Header=BB1_31 Depth=1
	s_delay_alu instid0(SALU_CYCLE_1)
	s_or_b32 exec_lo, exec_lo, s5
	s_mov_b32 s1, 0
                                        ; implicit-def: $vgpr27
.LBB1_69:                               ;   in Loop: Header=BB1_31 Depth=1
	s_or_saveexec_b32 s0, s4
	v_mov_b32_e32 v29, s1
	s_xor_b32 exec_lo, exec_lo, s0
	s_cbranch_execz .LBB1_71
; %bb.70:                               ;   in Loop: Header=BB1_31 Depth=1
	scratch_load_b64 v[25:26], v15, off
	v_add_nc_u32_e32 v15, 8, v15
	s_waitcnt vmcnt(0)
	v_and_b32_e32 v28, 0xff, v26
	v_and_b32_e32 v29, 0xff00, v26
	;; [unrolled: 1-line block ×4, first 2 shown]
	v_or3_b32 v25, v25, 0, 0
	s_delay_alu instid0(VALU_DEP_4) | instskip(SKIP_1) | instid1(VALU_DEP_2)
	v_or_b32_e32 v28, v28, v29
	v_add_nc_u32_e32 v29, -8, v27
	v_or3_b32 v26, v28, v30, v26
.LBB1_71:                               ;   in Loop: Header=BB1_31 Depth=1
	s_or_b32 exec_lo, exec_lo, s0
                                        ; implicit-def: $vgpr27_vgpr28
                                        ; implicit-def: $sgpr1
	s_delay_alu instid0(SALU_CYCLE_1) | instskip(NEXT) | instid1(VALU_DEP_1)
	s_mov_b32 s0, exec_lo
	v_cmpx_gt_u32_e32 8, v29
	s_xor_b32 s4, exec_lo, s0
	s_cbranch_execz .LBB1_77
; %bb.72:                               ;   in Loop: Header=BB1_31 Depth=1
	v_mov_b32_e32 v27, 0
	v_mov_b32_e32 v28, 0
	s_mov_b32 s5, exec_lo
	v_cmpx_ne_u32_e32 0, v29
	s_cbranch_execz .LBB1_76
; %bb.73:                               ;   in Loop: Header=BB1_31 Depth=1
	v_mov_b32_e32 v27, 0
	v_mov_b32_e32 v28, 0
	s_mov_b64 s[0:1], 0
	s_mov_b32 s6, 0
	s_mov_b32 s7, 0
	.p2align	6
.LBB1_74:                               ;   Parent Loop BB1_31 Depth=1
                                        ; =>  This Inner Loop Header: Depth=2
	s_delay_alu instid0(SALU_CYCLE_1) | instskip(SKIP_1) | instid1(SALU_CYCLE_1)
	v_dual_mov_b32 v31, s11 :: v_dual_add_nc_u32 v30, s7, v15
	s_add_i32 s7, s7, 1
	v_cmp_eq_u32_e32 vcc_lo, s7, v29
	scratch_load_u8 v30, v30, off
	s_waitcnt vmcnt(0)
	v_and_b32_e32 v30, 0xffff, v30
	s_delay_alu instid0(VALU_DEP_1) | instskip(SKIP_3) | instid1(VALU_DEP_1)
	v_lshlrev_b64 v[30:31], s0, v[30:31]
	s_add_u32 s0, s0, 8
	s_addc_u32 s1, s1, 0
	s_or_b32 s6, vcc_lo, s6
	v_or_b32_e32 v28, v31, v28
	s_delay_alu instid0(VALU_DEP_2)
	v_or_b32_e32 v27, v30, v27
	s_and_not1_b32 exec_lo, exec_lo, s6
	s_cbranch_execnz .LBB1_74
; %bb.75:                               ;   in Loop: Header=BB1_31 Depth=1
	s_or_b32 exec_lo, exec_lo, s6
.LBB1_76:                               ;   in Loop: Header=BB1_31 Depth=1
	s_delay_alu instid0(SALU_CYCLE_1)
	s_or_b32 exec_lo, exec_lo, s5
	s_mov_b32 s1, 0
                                        ; implicit-def: $vgpr29
.LBB1_77:                               ;   in Loop: Header=BB1_31 Depth=1
	s_or_saveexec_b32 s0, s4
	v_mov_b32_e32 v31, s1
	s_xor_b32 exec_lo, exec_lo, s0
	s_cbranch_execz .LBB1_79
; %bb.78:                               ;   in Loop: Header=BB1_31 Depth=1
	scratch_load_b64 v[27:28], v15, off
	v_add_nc_u32_e32 v15, 8, v15
	s_waitcnt vmcnt(0)
	v_and_b32_e32 v30, 0xff, v28
	v_and_b32_e32 v31, 0xff00, v28
	;; [unrolled: 1-line block ×4, first 2 shown]
	v_or3_b32 v27, v27, 0, 0
	s_delay_alu instid0(VALU_DEP_4) | instskip(SKIP_1) | instid1(VALU_DEP_2)
	v_or_b32_e32 v30, v30, v31
	v_add_nc_u32_e32 v31, -8, v29
	v_or3_b32 v28, v30, v32, v28
.LBB1_79:                               ;   in Loop: Header=BB1_31 Depth=1
	s_or_b32 exec_lo, exec_lo, s0
	s_delay_alu instid0(SALU_CYCLE_1) | instskip(NEXT) | instid1(VALU_DEP_1)
	s_mov_b32 s0, exec_lo
	v_cmpx_gt_u32_e32 8, v31
	s_xor_b32 s4, exec_lo, s0
	s_cbranch_execz .LBB1_85
; %bb.80:                               ;   in Loop: Header=BB1_31 Depth=1
	v_mov_b32_e32 v29, 0
	v_mov_b32_e32 v30, 0
	s_mov_b32 s5, exec_lo
	v_cmpx_ne_u32_e32 0, v31
	s_cbranch_execz .LBB1_84
; %bb.81:                               ;   in Loop: Header=BB1_31 Depth=1
	v_mov_b32_e32 v29, 0
	v_mov_b32_e32 v30, 0
	s_mov_b64 s[0:1], 0
	s_mov_b32 s6, 0
	.p2align	6
.LBB1_82:                               ;   Parent Loop BB1_31 Depth=1
                                        ; =>  This Inner Loop Header: Depth=2
	scratch_load_u8 v32, v15, off
	v_mov_b32_e32 v33, s11
	v_add_nc_u32_e32 v31, -1, v31
	v_add_nc_u32_e32 v15, 1, v15
	s_delay_alu instid0(VALU_DEP_2) | instskip(SKIP_2) | instid1(VALU_DEP_1)
	v_cmp_eq_u32_e32 vcc_lo, 0, v31
	s_waitcnt vmcnt(0)
	v_and_b32_e32 v32, 0xffff, v32
	v_lshlrev_b64 v[32:33], s0, v[32:33]
	s_add_u32 s0, s0, 8
	s_addc_u32 s1, s1, 0
	s_or_b32 s6, vcc_lo, s6
	s_delay_alu instid0(VALU_DEP_1) | instskip(NEXT) | instid1(VALU_DEP_2)
	v_or_b32_e32 v30, v33, v30
	v_or_b32_e32 v29, v32, v29
	s_and_not1_b32 exec_lo, exec_lo, s6
	s_cbranch_execnz .LBB1_82
; %bb.83:                               ;   in Loop: Header=BB1_31 Depth=1
	s_or_b32 exec_lo, exec_lo, s6
.LBB1_84:                               ;   in Loop: Header=BB1_31 Depth=1
	s_delay_alu instid0(SALU_CYCLE_1)
	s_or_b32 exec_lo, exec_lo, s5
                                        ; implicit-def: $vgpr15
.LBB1_85:                               ;   in Loop: Header=BB1_31 Depth=1
	s_and_not1_saveexec_b32 s0, s4
	s_cbranch_execz .LBB1_87
; %bb.86:                               ;   in Loop: Header=BB1_31 Depth=1
	scratch_load_b64 v[29:30], v15, off
	s_waitcnt vmcnt(0)
	v_and_b32_e32 v15, 0xff, v30
	v_and_b32_e32 v31, 0xff00, v30
	;; [unrolled: 1-line block ×4, first 2 shown]
	v_or3_b32 v29, v29, 0, 0
	s_delay_alu instid0(VALU_DEP_4) | instskip(NEXT) | instid1(VALU_DEP_1)
	v_or_b32_e32 v15, v15, v31
	v_or3_b32 v30, v15, v32, v30
.LBB1_87:                               ;   in Loop: Header=BB1_31 Depth=1
	s_or_b32 exec_lo, exec_lo, s0
	v_readfirstlane_b32 s0, v49
	v_mov_b32_e32 v37, 0
	v_mov_b32_e32 v38, 0
	s_delay_alu instid0(VALU_DEP_3) | instskip(NEXT) | instid1(VALU_DEP_1)
	v_cmp_eq_u32_e64 s0, s0, v49
	s_and_saveexec_b32 s1, s0
	s_cbranch_execz .LBB1_93
; %bb.88:                               ;   in Loop: Header=BB1_31 Depth=1
	global_load_b64 v[33:34], v16, s[2:3] offset:24 glc
	s_waitcnt vmcnt(0)
	buffer_gl1_inv
	buffer_gl0_inv
	s_clause 0x1
	global_load_b64 v[31:32], v16, s[2:3] offset:40
	global_load_b64 v[37:38], v16, s[2:3]
	s_mov_b32 s4, exec_lo
	s_waitcnt vmcnt(1)
	v_and_b32_e32 v15, v32, v34
	v_and_b32_e32 v31, v31, v33
	s_delay_alu instid0(VALU_DEP_2) | instskip(NEXT) | instid1(VALU_DEP_2)
	v_mul_lo_u32 v15, v15, 24
	v_mul_hi_u32 v32, v31, 24
	v_mul_lo_u32 v31, v31, 24
	s_delay_alu instid0(VALU_DEP_2) | instskip(SKIP_1) | instid1(VALU_DEP_2)
	v_add_nc_u32_e32 v15, v32, v15
	s_waitcnt vmcnt(0)
	v_add_co_u32 v31, vcc_lo, v37, v31
	s_delay_alu instid0(VALU_DEP_2)
	v_add_co_ci_u32_e32 v32, vcc_lo, v38, v15, vcc_lo
	global_load_b64 v[31:32], v[31:32], off glc
	s_waitcnt vmcnt(0)
	global_atomic_cmpswap_b64 v[37:38], v16, v[31:34], s[2:3] offset:24 glc
	s_waitcnt vmcnt(0)
	buffer_gl1_inv
	buffer_gl0_inv
	v_cmpx_ne_u64_e64 v[37:38], v[33:34]
	s_cbranch_execz .LBB1_92
; %bb.89:                               ;   in Loop: Header=BB1_31 Depth=1
	s_mov_b32 s5, 0
	.p2align	6
.LBB1_90:                               ;   Parent Loop BB1_31 Depth=1
                                        ; =>  This Inner Loop Header: Depth=2
	s_sleep 1
	s_clause 0x1
	global_load_b64 v[31:32], v16, s[2:3] offset:40
	global_load_b64 v[51:52], v16, s[2:3]
	v_dual_mov_b32 v33, v37 :: v_dual_mov_b32 v34, v38
	s_waitcnt vmcnt(1)
	s_delay_alu instid0(VALU_DEP_1) | instskip(SKIP_1) | instid1(VALU_DEP_1)
	v_and_b32_e32 v15, v31, v33
	s_waitcnt vmcnt(0)
	v_mad_u64_u32 v[37:38], null, v15, 24, v[51:52]
	v_and_b32_e32 v51, v32, v34
	s_delay_alu instid0(VALU_DEP_2) | instskip(NEXT) | instid1(VALU_DEP_1)
	v_mov_b32_e32 v15, v38
	v_mad_u64_u32 v[31:32], null, v51, 24, v[15:16]
	s_delay_alu instid0(VALU_DEP_1)
	v_mov_b32_e32 v38, v31
	global_load_b64 v[31:32], v[37:38], off glc
	s_waitcnt vmcnt(0)
	global_atomic_cmpswap_b64 v[37:38], v16, v[31:34], s[2:3] offset:24 glc
	s_waitcnt vmcnt(0)
	buffer_gl1_inv
	buffer_gl0_inv
	v_cmp_eq_u64_e32 vcc_lo, v[37:38], v[33:34]
	s_or_b32 s5, vcc_lo, s5
	s_delay_alu instid0(SALU_CYCLE_1)
	s_and_not1_b32 exec_lo, exec_lo, s5
	s_cbranch_execnz .LBB1_90
; %bb.91:                               ;   in Loop: Header=BB1_31 Depth=1
	s_or_b32 exec_lo, exec_lo, s5
.LBB1_92:                               ;   in Loop: Header=BB1_31 Depth=1
	s_delay_alu instid0(SALU_CYCLE_1)
	s_or_b32 exec_lo, exec_lo, s4
.LBB1_93:                               ;   in Loop: Header=BB1_31 Depth=1
	s_delay_alu instid0(SALU_CYCLE_1)
	s_or_b32 exec_lo, exec_lo, s1
	s_clause 0x1
	global_load_b64 v[51:52], v16, s[2:3] offset:40
	global_load_b128 v[31:34], v16, s[2:3]
	v_readfirstlane_b32 s4, v37
	v_readfirstlane_b32 s5, v38
	s_mov_b32 s1, exec_lo
	s_waitcnt vmcnt(1)
	v_readfirstlane_b32 s6, v51
	v_readfirstlane_b32 s7, v52
	s_delay_alu instid0(VALU_DEP_1) | instskip(NEXT) | instid1(SALU_CYCLE_1)
	s_and_b64 s[6:7], s[4:5], s[6:7]
	s_mul_i32 s12, s7, 24
	s_mul_hi_u32 s13, s6, 24
	s_mul_i32 s14, s6, 24
	s_add_i32 s13, s13, s12
	s_waitcnt vmcnt(0)
	v_add_co_u32 v37, vcc_lo, v31, s14
	v_add_co_ci_u32_e32 v38, vcc_lo, s13, v32, vcc_lo
	s_and_saveexec_b32 s12, s0
	s_cbranch_execz .LBB1_95
; %bb.94:                               ;   in Loop: Header=BB1_31 Depth=1
	v_mov_b32_e32 v15, s1
	global_store_b128 v[37:38], v[15:18], off offset:8
.LBB1_95:                               ;   in Loop: Header=BB1_31 Depth=1
	s_or_b32 exec_lo, exec_lo, s12
	v_cmp_lt_u64_e32 vcc_lo, 56, v[0:1]
	v_or_b32_e32 v15, 0, v10
	v_or_b32_e32 v51, v9, v39
	v_lshl_add_u32 v52, v35, 2, 28
	s_lshl_b64 s[6:7], s[6:7], 12
	s_delay_alu instid0(SALU_CYCLE_1) | instskip(NEXT) | instid1(VALU_DEP_1)
	v_add_co_u32 v33, s1, v33, s6
	v_add_co_ci_u32_e64 v34, s1, s7, v34, s1
	s_delay_alu instid0(VALU_DEP_3) | instskip(SKIP_1) | instid1(VALU_DEP_4)
	v_dual_cndmask_b32 v10, v15, v10 :: v_dual_and_b32 v15, 0x1e0, v52
	v_cndmask_b32_e32 v9, v51, v9, vcc_lo
	v_readfirstlane_b32 s6, v33
	s_delay_alu instid0(VALU_DEP_4) | instskip(NEXT) | instid1(VALU_DEP_3)
	v_readfirstlane_b32 s7, v34
	v_and_or_b32 v9, 0xffffff1f, v9, v15
	s_clause 0x3
	global_store_b128 v48, v[9:12], s[6:7]
	global_store_b128 v48, v[19:22], s[6:7] offset:16
	global_store_b128 v48, v[23:26], s[6:7] offset:32
	;; [unrolled: 1-line block ×3, first 2 shown]
	s_and_saveexec_b32 s1, s0
	s_cbranch_execz .LBB1_103
; %bb.96:                               ;   in Loop: Header=BB1_31 Depth=1
	s_clause 0x1
	global_load_b64 v[23:24], v16, s[2:3] offset:32 glc
	global_load_b64 v[9:10], v16, s[2:3] offset:40
	v_dual_mov_b32 v21, s4 :: v_dual_mov_b32 v22, s5
	s_waitcnt vmcnt(0)
	v_readfirstlane_b32 s6, v9
	v_readfirstlane_b32 s7, v10
	s_delay_alu instid0(VALU_DEP_1) | instskip(NEXT) | instid1(SALU_CYCLE_1)
	s_and_b64 s[6:7], s[6:7], s[4:5]
	s_mul_i32 s7, s7, 24
	s_mul_hi_u32 s12, s6, 24
	s_mul_i32 s6, s6, 24
	s_add_i32 s12, s12, s7
	v_add_co_u32 v19, vcc_lo, v31, s6
	v_add_co_ci_u32_e32 v20, vcc_lo, s12, v32, vcc_lo
	s_mov_b32 s6, exec_lo
	global_store_b64 v[19:20], v[23:24], off
	s_waitcnt_vscnt null, 0x0
	global_atomic_cmpswap_b64 v[11:12], v16, v[21:24], s[2:3] offset:32 glc
	s_waitcnt vmcnt(0)
	v_cmpx_ne_u64_e64 v[11:12], v[23:24]
	s_cbranch_execz .LBB1_99
; %bb.97:                               ;   in Loop: Header=BB1_31 Depth=1
	s_mov_b32 s7, 0
.LBB1_98:                               ;   Parent Loop BB1_31 Depth=1
                                        ; =>  This Inner Loop Header: Depth=2
	v_dual_mov_b32 v9, s4 :: v_dual_mov_b32 v10, s5
	s_sleep 1
	global_store_b64 v[19:20], v[11:12], off
	s_waitcnt_vscnt null, 0x0
	global_atomic_cmpswap_b64 v[9:10], v16, v[9:12], s[2:3] offset:32 glc
	s_waitcnt vmcnt(0)
	v_cmp_eq_u64_e32 vcc_lo, v[9:10], v[11:12]
	v_dual_mov_b32 v12, v10 :: v_dual_mov_b32 v11, v9
	s_or_b32 s7, vcc_lo, s7
	s_delay_alu instid0(SALU_CYCLE_1)
	s_and_not1_b32 exec_lo, exec_lo, s7
	s_cbranch_execnz .LBB1_98
.LBB1_99:                               ;   in Loop: Header=BB1_31 Depth=1
	s_or_b32 exec_lo, exec_lo, s6
	global_load_b64 v[9:10], v16, s[2:3] offset:16
	s_mov_b32 s7, exec_lo
	s_mov_b32 s6, exec_lo
	v_mbcnt_lo_u32_b32 v11, s7, 0
	s_delay_alu instid0(VALU_DEP_1)
	v_cmpx_eq_u32_e32 0, v11
	s_cbranch_execz .LBB1_101
; %bb.100:                              ;   in Loop: Header=BB1_31 Depth=1
	s_bcnt1_i32_b32 s7, s7
	s_delay_alu instid0(SALU_CYCLE_1)
	v_mov_b32_e32 v15, s7
	s_waitcnt vmcnt(0)
	global_atomic_add_u64 v[9:10], v[15:16], off offset:8
.LBB1_101:                              ;   in Loop: Header=BB1_31 Depth=1
	s_or_b32 exec_lo, exec_lo, s6
	s_waitcnt vmcnt(0)
	global_load_b64 v[11:12], v[9:10], off offset:16
	s_waitcnt vmcnt(0)
	v_cmp_eq_u64_e32 vcc_lo, 0, v[11:12]
	s_cbranch_vccnz .LBB1_103
; %bb.102:                              ;   in Loop: Header=BB1_31 Depth=1
	global_load_b32 v15, v[9:10], off offset:24
	s_waitcnt vmcnt(0)
	v_and_b32_e32 v9, 0xffffff, v15
	s_waitcnt_vscnt null, 0x0
	global_store_b64 v[11:12], v[15:16], off
	v_readfirstlane_b32 m0, v9
	s_sendmsg sendmsg(MSG_INTERRUPT)
.LBB1_103:                              ;   in Loop: Header=BB1_31 Depth=1
	s_or_b32 exec_lo, exec_lo, s1
	v_add_co_u32 v9, vcc_lo, v33, v48
	v_add_co_ci_u32_e32 v10, vcc_lo, 0, v34, vcc_lo
	s_branch .LBB1_107
	.p2align	6
.LBB1_104:                              ;   in Loop: Header=BB1_107 Depth=2
	s_or_b32 exec_lo, exec_lo, s1
	s_delay_alu instid0(VALU_DEP_1) | instskip(NEXT) | instid1(VALU_DEP_1)
	v_readfirstlane_b32 s1, v11
	s_cmp_eq_u32 s1, 0
	s_cbranch_scc1 .LBB1_106
; %bb.105:                              ;   in Loop: Header=BB1_107 Depth=2
	s_sleep 1
	s_cbranch_execnz .LBB1_107
	s_branch .LBB1_109
	.p2align	6
.LBB1_106:                              ;   in Loop: Header=BB1_31 Depth=1
	s_branch .LBB1_109
.LBB1_107:                              ;   Parent Loop BB1_31 Depth=1
                                        ; =>  This Inner Loop Header: Depth=2
	v_mov_b32_e32 v11, 1
	s_and_saveexec_b32 s1, s0
	s_cbranch_execz .LBB1_104
; %bb.108:                              ;   in Loop: Header=BB1_107 Depth=2
	global_load_b32 v11, v[37:38], off offset:20 glc
	s_waitcnt vmcnt(0)
	buffer_gl1_inv
	buffer_gl0_inv
	v_and_b32_e32 v11, 1, v11
	s_branch .LBB1_104
.LBB1_109:                              ;   in Loop: Header=BB1_31 Depth=1
	global_load_b128 v[9:12], v[9:10], off
	s_and_saveexec_b32 s1, s0
	s_cbranch_execz .LBB1_30
; %bb.110:                              ;   in Loop: Header=BB1_31 Depth=1
	s_clause 0x2
	global_load_b64 v[11:12], v16, s[2:3] offset:40
	global_load_b64 v[23:24], v16, s[2:3] offset:24 glc
	global_load_b64 v[21:22], v16, s[2:3]
	s_waitcnt vmcnt(2)
	v_add_co_u32 v15, vcc_lo, v11, 1
	v_add_co_ci_u32_e32 v25, vcc_lo, 0, v12, vcc_lo
	s_delay_alu instid0(VALU_DEP_2) | instskip(NEXT) | instid1(VALU_DEP_2)
	v_add_co_u32 v19, vcc_lo, v15, s4
	v_add_co_ci_u32_e32 v20, vcc_lo, s5, v25, vcc_lo
	s_delay_alu instid0(VALU_DEP_1) | instskip(SKIP_1) | instid1(VALU_DEP_1)
	v_cmp_eq_u64_e32 vcc_lo, 0, v[19:20]
	v_dual_cndmask_b32 v20, v20, v25 :: v_dual_cndmask_b32 v19, v19, v15
	v_and_b32_e32 v12, v20, v12
	s_delay_alu instid0(VALU_DEP_2) | instskip(NEXT) | instid1(VALU_DEP_1)
	v_and_b32_e32 v11, v19, v11
	v_mul_hi_u32 v15, v11, 24
	v_mul_lo_u32 v11, v11, 24
	s_waitcnt vmcnt(0)
	s_delay_alu instid0(VALU_DEP_1) | instskip(SKIP_2) | instid1(VALU_DEP_1)
	v_add_co_u32 v11, vcc_lo, v21, v11
	v_mov_b32_e32 v21, v23
	v_mul_lo_u32 v12, v12, 24
	v_add_nc_u32_e32 v12, v15, v12
	s_delay_alu instid0(VALU_DEP_1)
	v_add_co_ci_u32_e32 v12, vcc_lo, v22, v12, vcc_lo
	v_mov_b32_e32 v22, v24
	global_store_b64 v[11:12], v[23:24], off
	s_waitcnt_vscnt null, 0x0
	global_atomic_cmpswap_b64 v[21:22], v16, v[19:22], s[2:3] offset:24 glc
	s_waitcnt vmcnt(0)
	v_cmp_ne_u64_e32 vcc_lo, v[21:22], v[23:24]
	s_and_b32 exec_lo, exec_lo, vcc_lo
	s_cbranch_execz .LBB1_30
; %bb.111:                              ;   in Loop: Header=BB1_31 Depth=1
	s_mov_b32 s0, 0
.LBB1_112:                              ;   Parent Loop BB1_31 Depth=1
                                        ; =>  This Inner Loop Header: Depth=2
	s_sleep 1
	global_store_b64 v[11:12], v[21:22], off
	s_waitcnt_vscnt null, 0x0
	global_atomic_cmpswap_b64 v[23:24], v16, v[19:22], s[2:3] offset:24 glc
	s_waitcnt vmcnt(0)
	v_cmp_eq_u64_e32 vcc_lo, v[23:24], v[21:22]
	v_dual_mov_b32 v21, v23 :: v_dual_mov_b32 v22, v24
	s_or_b32 s0, vcc_lo, s0
	s_delay_alu instid0(SALU_CYCLE_1)
	s_and_not1_b32 exec_lo, exec_lo, s0
	s_cbranch_execnz .LBB1_112
	s_branch .LBB1_30
.LBB1_113:
                                        ; implicit-def: $vgpr9_vgpr10
	s_cbranch_execnz .LBB1_115
	s_branch .LBB1_142
.LBB1_114:
	s_or_b32 exec_lo, exec_lo, s10
	s_branch .LBB1_142
.LBB1_115:
	v_readfirstlane_b32 s0, v49
	v_mov_b32_e32 v0, 0
	v_mov_b32_e32 v1, 0
	s_delay_alu instid0(VALU_DEP_3) | instskip(NEXT) | instid1(VALU_DEP_1)
	v_cmp_eq_u32_e64 s0, s0, v49
	s_and_saveexec_b32 s1, s0
	s_cbranch_execz .LBB1_121
; %bb.116:
	s_waitcnt vmcnt(0)
	v_mov_b32_e32 v9, 0
	s_mov_b32 s4, exec_lo
	global_load_b64 v[17:18], v9, s[2:3] offset:24 glc
	s_waitcnt vmcnt(0)
	buffer_gl1_inv
	buffer_gl0_inv
	s_clause 0x1
	global_load_b64 v[0:1], v9, s[2:3] offset:40
	global_load_b64 v[10:11], v9, s[2:3]
	s_waitcnt vmcnt(1)
	v_and_b32_e32 v0, v0, v17
	v_and_b32_e32 v1, v1, v18
	s_delay_alu instid0(VALU_DEP_2) | instskip(NEXT) | instid1(VALU_DEP_2)
	v_mul_hi_u32 v12, v0, 24
	v_mul_lo_u32 v1, v1, 24
	v_mul_lo_u32 v0, v0, 24
	s_delay_alu instid0(VALU_DEP_2) | instskip(SKIP_1) | instid1(VALU_DEP_2)
	v_add_nc_u32_e32 v1, v12, v1
	s_waitcnt vmcnt(0)
	v_add_co_u32 v0, vcc_lo, v10, v0
	s_delay_alu instid0(VALU_DEP_2)
	v_add_co_ci_u32_e32 v1, vcc_lo, v11, v1, vcc_lo
	global_load_b64 v[15:16], v[0:1], off glc
	s_waitcnt vmcnt(0)
	global_atomic_cmpswap_b64 v[0:1], v9, v[15:18], s[2:3] offset:24 glc
	s_waitcnt vmcnt(0)
	buffer_gl1_inv
	buffer_gl0_inv
	v_cmpx_ne_u64_e64 v[0:1], v[17:18]
	s_cbranch_execz .LBB1_120
; %bb.117:
	s_mov_b32 s5, 0
	.p2align	6
.LBB1_118:                              ; =>This Inner Loop Header: Depth=1
	s_sleep 1
	s_clause 0x1
	global_load_b64 v[10:11], v9, s[2:3] offset:40
	global_load_b64 v[15:16], v9, s[2:3]
	v_dual_mov_b32 v18, v1 :: v_dual_mov_b32 v17, v0
	s_waitcnt vmcnt(1)
	s_delay_alu instid0(VALU_DEP_1) | instskip(NEXT) | instid1(VALU_DEP_2)
	v_and_b32_e32 v10, v10, v17
	v_and_b32_e32 v12, v11, v18
	s_waitcnt vmcnt(0)
	s_delay_alu instid0(VALU_DEP_2) | instskip(NEXT) | instid1(VALU_DEP_1)
	v_mad_u64_u32 v[0:1], null, v10, 24, v[15:16]
	v_mad_u64_u32 v[10:11], null, v12, 24, v[1:2]
	s_delay_alu instid0(VALU_DEP_1)
	v_mov_b32_e32 v1, v10
	global_load_b64 v[15:16], v[0:1], off glc
	s_waitcnt vmcnt(0)
	global_atomic_cmpswap_b64 v[0:1], v9, v[15:18], s[2:3] offset:24 glc
	s_waitcnt vmcnt(0)
	buffer_gl1_inv
	buffer_gl0_inv
	v_cmp_eq_u64_e32 vcc_lo, v[0:1], v[17:18]
	s_or_b32 s5, vcc_lo, s5
	s_delay_alu instid0(SALU_CYCLE_1)
	s_and_not1_b32 exec_lo, exec_lo, s5
	s_cbranch_execnz .LBB1_118
; %bb.119:
	s_or_b32 exec_lo, exec_lo, s5
.LBB1_120:
	s_delay_alu instid0(SALU_CYCLE_1)
	s_or_b32 exec_lo, exec_lo, s4
.LBB1_121:
	s_delay_alu instid0(SALU_CYCLE_1)
	s_or_b32 exec_lo, exec_lo, s1
	v_mov_b32_e32 v15, 0
	v_readfirstlane_b32 s4, v0
	v_readfirstlane_b32 s5, v1
	s_mov_b32 s1, exec_lo
	s_clause 0x1
	global_load_b64 v[16:17], v15, s[2:3] offset:40
	global_load_b128 v[9:12], v15, s[2:3]
	s_waitcnt vmcnt(1)
	v_readfirstlane_b32 s6, v16
	v_readfirstlane_b32 s7, v17
	s_delay_alu instid0(VALU_DEP_1) | instskip(NEXT) | instid1(SALU_CYCLE_1)
	s_and_b64 s[6:7], s[4:5], s[6:7]
	s_mul_i32 s10, s7, 24
	s_mul_hi_u32 s11, s6, 24
	s_mul_i32 s12, s6, 24
	s_add_i32 s11, s11, s10
	s_waitcnt vmcnt(0)
	v_add_co_u32 v0, vcc_lo, v9, s12
	v_add_co_ci_u32_e32 v1, vcc_lo, s11, v10, vcc_lo
	s_and_saveexec_b32 s10, s0
	s_cbranch_execz .LBB1_123
; %bb.122:
	v_dual_mov_b32 v16, s1 :: v_dual_mov_b32 v17, v15
	v_dual_mov_b32 v18, 2 :: v_dual_mov_b32 v19, 1
	global_store_b128 v[0:1], v[16:19], off offset:8
.LBB1_123:
	s_or_b32 exec_lo, exec_lo, s10
	s_lshl_b64 s[6:7], s[6:7], 12
	s_mov_b32 s12, 0
	v_add_co_u32 v11, vcc_lo, v11, s6
	v_add_co_ci_u32_e32 v12, vcc_lo, s7, v12, vcc_lo
	s_mov_b32 s15, s12
	s_delay_alu instid0(VALU_DEP_2)
	v_add_co_u32 v17, vcc_lo, v11, v48
	s_mov_b32 s13, s12
	s_mov_b32 s14, s12
	v_and_or_b32 v13, 0xffffff1f, v13, 32
	v_mov_b32_e32 v16, v15
	v_readfirstlane_b32 s6, v11
	v_readfirstlane_b32 s7, v12
	v_dual_mov_b32 v22, s15 :: v_dual_mov_b32 v19, s12
	v_add_co_ci_u32_e32 v18, vcc_lo, 0, v12, vcc_lo
	v_dual_mov_b32 v21, s14 :: v_dual_mov_b32 v20, s13
	s_clause 0x3
	global_store_b128 v48, v[13:16], s[6:7]
	global_store_b128 v48, v[19:22], s[6:7] offset:16
	global_store_b128 v48, v[19:22], s[6:7] offset:32
	;; [unrolled: 1-line block ×3, first 2 shown]
	s_and_saveexec_b32 s1, s0
	s_cbranch_execz .LBB1_131
; %bb.124:
	v_dual_mov_b32 v15, 0 :: v_dual_mov_b32 v20, s5
	v_mov_b32_e32 v19, s4
	s_clause 0x1
	global_load_b64 v[21:22], v15, s[2:3] offset:32 glc
	global_load_b64 v[11:12], v15, s[2:3] offset:40
	s_waitcnt vmcnt(0)
	v_readfirstlane_b32 s6, v11
	v_readfirstlane_b32 s7, v12
	s_delay_alu instid0(VALU_DEP_1) | instskip(NEXT) | instid1(SALU_CYCLE_1)
	s_and_b64 s[6:7], s[6:7], s[4:5]
	s_mul_i32 s7, s7, 24
	s_mul_hi_u32 s10, s6, 24
	s_mul_i32 s6, s6, 24
	s_add_i32 s10, s10, s7
	v_add_co_u32 v13, vcc_lo, v9, s6
	v_add_co_ci_u32_e32 v14, vcc_lo, s10, v10, vcc_lo
	s_mov_b32 s6, exec_lo
	global_store_b64 v[13:14], v[21:22], off
	s_waitcnt_vscnt null, 0x0
	global_atomic_cmpswap_b64 v[11:12], v15, v[19:22], s[2:3] offset:32 glc
	s_waitcnt vmcnt(0)
	v_cmpx_ne_u64_e64 v[11:12], v[21:22]
	s_cbranch_execz .LBB1_127
; %bb.125:
	s_mov_b32 s7, 0
.LBB1_126:                              ; =>This Inner Loop Header: Depth=1
	v_dual_mov_b32 v9, s4 :: v_dual_mov_b32 v10, s5
	s_sleep 1
	global_store_b64 v[13:14], v[11:12], off
	s_waitcnt_vscnt null, 0x0
	global_atomic_cmpswap_b64 v[9:10], v15, v[9:12], s[2:3] offset:32 glc
	s_waitcnt vmcnt(0)
	v_cmp_eq_u64_e32 vcc_lo, v[9:10], v[11:12]
	v_dual_mov_b32 v12, v10 :: v_dual_mov_b32 v11, v9
	s_or_b32 s7, vcc_lo, s7
	s_delay_alu instid0(SALU_CYCLE_1)
	s_and_not1_b32 exec_lo, exec_lo, s7
	s_cbranch_execnz .LBB1_126
.LBB1_127:
	s_or_b32 exec_lo, exec_lo, s6
	v_mov_b32_e32 v12, 0
	s_mov_b32 s7, exec_lo
	s_mov_b32 s6, exec_lo
	v_mbcnt_lo_u32_b32 v11, s7, 0
	global_load_b64 v[9:10], v12, s[2:3] offset:16
	v_cmpx_eq_u32_e32 0, v11
	s_cbranch_execz .LBB1_129
; %bb.128:
	s_bcnt1_i32_b32 s7, s7
	s_delay_alu instid0(SALU_CYCLE_1)
	v_mov_b32_e32 v11, s7
	s_waitcnt vmcnt(0)
	global_atomic_add_u64 v[9:10], v[11:12], off offset:8
.LBB1_129:
	s_or_b32 exec_lo, exec_lo, s6
	s_waitcnt vmcnt(0)
	global_load_b64 v[11:12], v[9:10], off offset:16
	s_waitcnt vmcnt(0)
	v_cmp_eq_u64_e32 vcc_lo, 0, v[11:12]
	s_cbranch_vccnz .LBB1_131
; %bb.130:
	global_load_b32 v9, v[9:10], off offset:24
	s_waitcnt vmcnt(0)
	v_dual_mov_b32 v10, 0 :: v_dual_and_b32 v13, 0xffffff, v9
	s_waitcnt_vscnt null, 0x0
	global_store_b64 v[11:12], v[9:10], off
	v_readfirstlane_b32 m0, v13
	s_sendmsg sendmsg(MSG_INTERRUPT)
.LBB1_131:
	s_or_b32 exec_lo, exec_lo, s1
	s_branch .LBB1_135
	.p2align	6
.LBB1_132:                              ;   in Loop: Header=BB1_135 Depth=1
	s_or_b32 exec_lo, exec_lo, s1
	s_delay_alu instid0(VALU_DEP_1) | instskip(NEXT) | instid1(VALU_DEP_1)
	v_readfirstlane_b32 s1, v9
	s_cmp_eq_u32 s1, 0
	s_cbranch_scc1 .LBB1_134
; %bb.133:                              ;   in Loop: Header=BB1_135 Depth=1
	s_sleep 1
	s_cbranch_execnz .LBB1_135
	s_branch .LBB1_137
	.p2align	6
.LBB1_134:
	s_branch .LBB1_137
.LBB1_135:                              ; =>This Inner Loop Header: Depth=1
	v_mov_b32_e32 v9, 1
	s_and_saveexec_b32 s1, s0
	s_cbranch_execz .LBB1_132
; %bb.136:                              ;   in Loop: Header=BB1_135 Depth=1
	global_load_b32 v9, v[0:1], off offset:20 glc
	s_waitcnt vmcnt(0)
	buffer_gl1_inv
	buffer_gl0_inv
	v_and_b32_e32 v9, 1, v9
	s_branch .LBB1_132
.LBB1_137:
	global_load_b64 v[9:10], v[17:18], off
	s_and_saveexec_b32 s1, s0
	s_cbranch_execz .LBB1_141
; %bb.138:
	v_mov_b32_e32 v15, 0
	s_clause 0x2
	global_load_b64 v[0:1], v15, s[2:3] offset:40
	global_load_b64 v[16:17], v15, s[2:3] offset:24 glc
	global_load_b64 v[13:14], v15, s[2:3]
	s_waitcnt vmcnt(2)
	v_add_co_u32 v18, vcc_lo, v0, 1
	v_add_co_ci_u32_e32 v19, vcc_lo, 0, v1, vcc_lo
	s_delay_alu instid0(VALU_DEP_2) | instskip(NEXT) | instid1(VALU_DEP_2)
	v_add_co_u32 v11, vcc_lo, v18, s4
	v_add_co_ci_u32_e32 v12, vcc_lo, s5, v19, vcc_lo
	s_delay_alu instid0(VALU_DEP_1) | instskip(SKIP_1) | instid1(VALU_DEP_1)
	v_cmp_eq_u64_e32 vcc_lo, 0, v[11:12]
	v_dual_cndmask_b32 v12, v12, v19 :: v_dual_cndmask_b32 v11, v11, v18
	v_and_b32_e32 v1, v12, v1
	s_delay_alu instid0(VALU_DEP_2) | instskip(NEXT) | instid1(VALU_DEP_2)
	v_and_b32_e32 v0, v11, v0
	v_mul_lo_u32 v1, v1, 24
	s_delay_alu instid0(VALU_DEP_2) | instskip(SKIP_1) | instid1(VALU_DEP_2)
	v_mul_hi_u32 v18, v0, 24
	v_mul_lo_u32 v0, v0, 24
	v_add_nc_u32_e32 v1, v18, v1
	s_waitcnt vmcnt(0)
	s_delay_alu instid0(VALU_DEP_2) | instskip(SKIP_1) | instid1(VALU_DEP_3)
	v_add_co_u32 v0, vcc_lo, v13, v0
	v_mov_b32_e32 v13, v16
	v_add_co_ci_u32_e32 v1, vcc_lo, v14, v1, vcc_lo
	v_mov_b32_e32 v14, v17
	global_store_b64 v[0:1], v[16:17], off
	s_waitcnt_vscnt null, 0x0
	global_atomic_cmpswap_b64 v[13:14], v15, v[11:14], s[2:3] offset:24 glc
	s_waitcnt vmcnt(0)
	v_cmp_ne_u64_e32 vcc_lo, v[13:14], v[16:17]
	s_and_b32 exec_lo, exec_lo, vcc_lo
	s_cbranch_execz .LBB1_141
; %bb.139:
	s_mov_b32 s0, 0
.LBB1_140:                              ; =>This Inner Loop Header: Depth=1
	s_sleep 1
	global_store_b64 v[0:1], v[13:14], off
	s_waitcnt_vscnt null, 0x0
	global_atomic_cmpswap_b64 v[16:17], v15, v[11:14], s[2:3] offset:24 glc
	s_waitcnt vmcnt(0)
	v_cmp_eq_u64_e32 vcc_lo, v[16:17], v[13:14]
	v_dual_mov_b32 v13, v16 :: v_dual_mov_b32 v14, v17
	s_or_b32 s0, vcc_lo, s0
	s_delay_alu instid0(SALU_CYCLE_1)
	s_and_not1_b32 exec_lo, exec_lo, s0
	s_cbranch_execnz .LBB1_140
.LBB1_141:
	s_or_b32 exec_lo, exec_lo, s1
.LBB1_142:
	s_waitcnt vmcnt(0)
	v_dual_mov_b32 v12, v3 :: v_dual_mov_b32 v11, v2
	s_mov_b32 s0, 0
.LBB1_143:                              ; =>This Inner Loop Header: Depth=1
	flat_load_u8 v13, v[11:12]
	v_add_co_u32 v0, vcc_lo, v11, 1
	v_add_co_ci_u32_e32 v1, vcc_lo, 0, v12, vcc_lo
	s_delay_alu instid0(VALU_DEP_1) | instskip(SKIP_3) | instid1(SALU_CYCLE_1)
	v_dual_mov_b32 v12, v1 :: v_dual_mov_b32 v11, v0
	s_waitcnt vmcnt(0) lgkmcnt(0)
	v_cmp_eq_u16_e32 vcc_lo, 0, v13
	s_or_b32 s0, vcc_lo, s0
	s_and_not1_b32 exec_lo, exec_lo, s0
	s_cbranch_execnz .LBB1_143
; %bb.144:
	s_or_b32 exec_lo, exec_lo, s0
	s_delay_alu instid0(SALU_CYCLE_1)
	s_mov_b32 s0, exec_lo
	v_cmpx_ne_u64_e32 0, v[2:3]
	s_xor_b32 s10, exec_lo, s0
	s_cbranch_execz .LBB1_230
; %bb.145:
	v_sub_nc_u32_e32 v0, v0, v2
	v_dual_mov_b32 v13, 0 :: v_dual_and_b32 v50, 2, v9
	v_dual_mov_b32 v14, 2 :: v_dual_and_b32 v9, -3, v9
	s_delay_alu instid0(VALU_DEP_3)
	v_ashrrev_i32_e32 v1, 31, v0
	v_mov_b32_e32 v15, 1
	s_mov_b32 s12, 0
	s_mov_b32 s11, 0
	s_branch .LBB1_147
.LBB1_146:                              ;   in Loop: Header=BB1_147 Depth=1
	s_or_b32 exec_lo, exec_lo, s1
	v_sub_co_u32 v0, vcc_lo, v0, v36
	v_sub_co_ci_u32_e32 v1, vcc_lo, v1, v37, vcc_lo
	v_add_co_u32 v2, s0, v2, v36
	s_delay_alu instid0(VALU_DEP_1) | instskip(NEXT) | instid1(VALU_DEP_3)
	v_add_co_ci_u32_e64 v3, s0, v3, v37, s0
	v_cmp_eq_u64_e32 vcc_lo, 0, v[0:1]
	s_or_b32 s11, vcc_lo, s11
	s_delay_alu instid0(SALU_CYCLE_1)
	s_and_not1_b32 exec_lo, exec_lo, s11
	s_cbranch_execz .LBB1_229
.LBB1_147:                              ; =>This Loop Header: Depth=1
                                        ;     Child Loop BB1_150 Depth 2
                                        ;     Child Loop BB1_158 Depth 2
	;; [unrolled: 1-line block ×11, first 2 shown]
	v_cmp_gt_u64_e32 vcc_lo, 56, v[0:1]
	s_mov_b32 s1, exec_lo
                                        ; implicit-def: $vgpr18_vgpr19
                                        ; implicit-def: $sgpr4
	v_dual_cndmask_b32 v37, 0, v1 :: v_dual_cndmask_b32 v36, 56, v0
	v_cmpx_gt_u64_e32 8, v[0:1]
	s_xor_b32 s1, exec_lo, s1
	s_cbranch_execz .LBB1_153
; %bb.148:                              ;   in Loop: Header=BB1_147 Depth=1
	v_mov_b32_e32 v18, 0
	v_mov_b32_e32 v19, 0
	s_mov_b64 s[4:5], 0
	s_mov_b32 s6, exec_lo
	v_cmpx_ne_u64_e32 0, v[0:1]
	s_cbranch_execz .LBB1_152
; %bb.149:                              ;   in Loop: Header=BB1_147 Depth=1
	s_waitcnt vmcnt(0)
	v_lshlrev_b64 v[11:12], 3, v[36:37]
	v_dual_mov_b32 v18, 0 :: v_dual_mov_b32 v17, v3
	v_dual_mov_b32 v19, 0 :: v_dual_mov_b32 v16, v2
	s_mov_b32 s7, 0
	.p2align	6
.LBB1_150:                              ;   Parent Loop BB1_147 Depth=1
                                        ; =>  This Inner Loop Header: Depth=2
	flat_load_u8 v12, v[16:17]
	v_mov_b32_e32 v21, s12
	v_add_co_u32 v16, vcc_lo, v16, 1
	v_add_co_ci_u32_e32 v17, vcc_lo, 0, v17, vcc_lo
	s_waitcnt vmcnt(0) lgkmcnt(0)
	v_and_b32_e32 v20, 0xffff, v12
	s_delay_alu instid0(VALU_DEP_1) | instskip(SKIP_3) | instid1(VALU_DEP_2)
	v_lshlrev_b64 v[20:21], s4, v[20:21]
	s_add_u32 s4, s4, 8
	s_addc_u32 s5, s5, 0
	v_cmp_eq_u32_e64 s0, s4, v11
	v_or_b32_e32 v19, v21, v19
	s_delay_alu instid0(VALU_DEP_3) | instskip(NEXT) | instid1(VALU_DEP_3)
	v_or_b32_e32 v18, v20, v18
	s_or_b32 s7, s0, s7
	s_delay_alu instid0(SALU_CYCLE_1)
	s_and_not1_b32 exec_lo, exec_lo, s7
	s_cbranch_execnz .LBB1_150
; %bb.151:                              ;   in Loop: Header=BB1_147 Depth=1
	s_or_b32 exec_lo, exec_lo, s7
.LBB1_152:                              ;   in Loop: Header=BB1_147 Depth=1
	s_delay_alu instid0(SALU_CYCLE_1)
	s_or_b32 exec_lo, exec_lo, s6
	s_mov_b32 s4, 0
.LBB1_153:                              ;   in Loop: Header=BB1_147 Depth=1
	s_or_saveexec_b32 s0, s1
	s_waitcnt vmcnt(0)
	v_mov_b32_e32 v12, v3
	v_dual_mov_b32 v16, s4 :: v_dual_mov_b32 v11, v2
	s_xor_b32 exec_lo, exec_lo, s0
	s_cbranch_execz .LBB1_155
; %bb.154:                              ;   in Loop: Header=BB1_147 Depth=1
	flat_load_b64 v[11:12], v[2:3]
	s_waitcnt vmcnt(0) lgkmcnt(0)
	v_and_b32_e32 v16, 0xff, v12
	v_and_b32_e32 v17, 0xff00, v12
	;; [unrolled: 1-line block ×4, first 2 shown]
	v_or3_b32 v18, v11, 0, 0
	v_add_co_u32 v11, vcc_lo, v2, 8
	v_or_b32_e32 v17, v16, v17
	v_add_nc_u32_e32 v16, -8, v36
	s_delay_alu instid0(VALU_DEP_2)
	v_or3_b32 v19, v17, v19, v12
	v_add_co_ci_u32_e32 v12, vcc_lo, 0, v3, vcc_lo
.LBB1_155:                              ;   in Loop: Header=BB1_147 Depth=1
	s_or_b32 exec_lo, exec_lo, s0
                                        ; implicit-def: $vgpr20_vgpr21
                                        ; implicit-def: $sgpr1
	s_delay_alu instid0(SALU_CYCLE_1)
	s_mov_b32 s0, exec_lo
	v_cmpx_gt_u32_e32 8, v16
	s_xor_b32 s6, exec_lo, s0
	s_cbranch_execz .LBB1_161
; %bb.156:                              ;   in Loop: Header=BB1_147 Depth=1
	v_mov_b32_e32 v20, 0
	v_mov_b32_e32 v21, 0
	s_mov_b32 s7, exec_lo
	v_cmpx_ne_u32_e32 0, v16
	s_cbranch_execz .LBB1_160
; %bb.157:                              ;   in Loop: Header=BB1_147 Depth=1
	v_mov_b32_e32 v20, 0
	v_mov_b32_e32 v21, 0
	s_mov_b64 s[0:1], 0
	s_mov_b32 s13, 0
	s_mov_b64 s[4:5], 0
	.p2align	6
.LBB1_158:                              ;   Parent Loop BB1_147 Depth=1
                                        ; =>  This Inner Loop Header: Depth=2
	s_delay_alu instid0(SALU_CYCLE_1)
	v_add_co_u32 v22, vcc_lo, v11, s4
	v_add_co_ci_u32_e32 v23, vcc_lo, s5, v12, vcc_lo
	s_add_u32 s4, s4, 1
	s_addc_u32 s5, s5, 0
	v_cmp_eq_u32_e32 vcc_lo, s4, v16
	flat_load_u8 v17, v[22:23]
	s_waitcnt vmcnt(0) lgkmcnt(0)
	v_dual_mov_b32 v23, s12 :: v_dual_and_b32 v22, 0xffff, v17
	s_delay_alu instid0(VALU_DEP_1) | instskip(SKIP_3) | instid1(VALU_DEP_1)
	v_lshlrev_b64 v[22:23], s0, v[22:23]
	s_add_u32 s0, s0, 8
	s_addc_u32 s1, s1, 0
	s_or_b32 s13, vcc_lo, s13
	v_or_b32_e32 v21, v23, v21
	s_delay_alu instid0(VALU_DEP_2)
	v_or_b32_e32 v20, v22, v20
	s_and_not1_b32 exec_lo, exec_lo, s13
	s_cbranch_execnz .LBB1_158
; %bb.159:                              ;   in Loop: Header=BB1_147 Depth=1
	s_or_b32 exec_lo, exec_lo, s13
.LBB1_160:                              ;   in Loop: Header=BB1_147 Depth=1
	s_delay_alu instid0(SALU_CYCLE_1)
	s_or_b32 exec_lo, exec_lo, s7
	s_mov_b32 s1, 0
                                        ; implicit-def: $vgpr16
.LBB1_161:                              ;   in Loop: Header=BB1_147 Depth=1
	s_or_saveexec_b32 s0, s6
	v_mov_b32_e32 v17, s1
	s_xor_b32 exec_lo, exec_lo, s0
	s_cbranch_execz .LBB1_163
; %bb.162:                              ;   in Loop: Header=BB1_147 Depth=1
	flat_load_b64 v[20:21], v[11:12]
	v_add_co_u32 v11, vcc_lo, v11, 8
	v_add_co_ci_u32_e32 v12, vcc_lo, 0, v12, vcc_lo
	s_waitcnt vmcnt(0) lgkmcnt(0)
	v_and_b32_e32 v17, 0xff, v21
	v_and_b32_e32 v22, 0xff00, v21
	;; [unrolled: 1-line block ×4, first 2 shown]
	v_or3_b32 v20, v20, 0, 0
	s_delay_alu instid0(VALU_DEP_4) | instskip(SKIP_1) | instid1(VALU_DEP_2)
	v_or_b32_e32 v22, v17, v22
	v_add_nc_u32_e32 v17, -8, v16
	v_or3_b32 v21, v22, v23, v21
.LBB1_163:                              ;   in Loop: Header=BB1_147 Depth=1
	s_or_b32 exec_lo, exec_lo, s0
                                        ; implicit-def: $sgpr1
	s_delay_alu instid0(SALU_CYCLE_1) | instskip(NEXT) | instid1(VALU_DEP_1)
	s_mov_b32 s0, exec_lo
	v_cmpx_gt_u32_e32 8, v17
	s_xor_b32 s6, exec_lo, s0
	s_cbranch_execz .LBB1_169
; %bb.164:                              ;   in Loop: Header=BB1_147 Depth=1
	v_mov_b32_e32 v22, 0
	v_mov_b32_e32 v23, 0
	s_mov_b32 s7, exec_lo
	v_cmpx_ne_u32_e32 0, v17
	s_cbranch_execz .LBB1_168
; %bb.165:                              ;   in Loop: Header=BB1_147 Depth=1
	v_mov_b32_e32 v22, 0
	v_mov_b32_e32 v23, 0
	s_mov_b64 s[0:1], 0
	s_mov_b32 s13, 0
	s_mov_b64 s[4:5], 0
	.p2align	6
.LBB1_166:                              ;   Parent Loop BB1_147 Depth=1
                                        ; =>  This Inner Loop Header: Depth=2
	s_delay_alu instid0(SALU_CYCLE_1)
	v_add_co_u32 v24, vcc_lo, v11, s4
	v_add_co_ci_u32_e32 v25, vcc_lo, s5, v12, vcc_lo
	s_add_u32 s4, s4, 1
	s_addc_u32 s5, s5, 0
	v_cmp_eq_u32_e32 vcc_lo, s4, v17
	flat_load_u8 v16, v[24:25]
	s_waitcnt vmcnt(0) lgkmcnt(0)
	v_dual_mov_b32 v25, s12 :: v_dual_and_b32 v24, 0xffff, v16
	s_delay_alu instid0(VALU_DEP_1) | instskip(SKIP_3) | instid1(VALU_DEP_1)
	v_lshlrev_b64 v[24:25], s0, v[24:25]
	s_add_u32 s0, s0, 8
	s_addc_u32 s1, s1, 0
	s_or_b32 s13, vcc_lo, s13
	v_or_b32_e32 v23, v25, v23
	s_delay_alu instid0(VALU_DEP_2)
	v_or_b32_e32 v22, v24, v22
	s_and_not1_b32 exec_lo, exec_lo, s13
	s_cbranch_execnz .LBB1_166
; %bb.167:                              ;   in Loop: Header=BB1_147 Depth=1
	s_or_b32 exec_lo, exec_lo, s13
.LBB1_168:                              ;   in Loop: Header=BB1_147 Depth=1
	s_delay_alu instid0(SALU_CYCLE_1)
	s_or_b32 exec_lo, exec_lo, s7
	s_mov_b32 s1, 0
                                        ; implicit-def: $vgpr17
.LBB1_169:                              ;   in Loop: Header=BB1_147 Depth=1
	s_or_saveexec_b32 s0, s6
	v_mov_b32_e32 v16, s1
	s_xor_b32 exec_lo, exec_lo, s0
	s_cbranch_execz .LBB1_171
; %bb.170:                              ;   in Loop: Header=BB1_147 Depth=1
	flat_load_b64 v[22:23], v[11:12]
	v_add_co_u32 v11, vcc_lo, v11, 8
	v_add_co_ci_u32_e32 v12, vcc_lo, 0, v12, vcc_lo
	s_waitcnt vmcnt(0) lgkmcnt(0)
	v_and_b32_e32 v16, 0xff, v23
	v_and_b32_e32 v24, 0xff00, v23
	;; [unrolled: 1-line block ×4, first 2 shown]
	v_or3_b32 v22, v22, 0, 0
	s_delay_alu instid0(VALU_DEP_4) | instskip(SKIP_1) | instid1(VALU_DEP_2)
	v_or_b32_e32 v24, v16, v24
	v_add_nc_u32_e32 v16, -8, v17
	v_or3_b32 v23, v24, v25, v23
.LBB1_171:                              ;   in Loop: Header=BB1_147 Depth=1
	s_or_b32 exec_lo, exec_lo, s0
                                        ; implicit-def: $vgpr24_vgpr25
                                        ; implicit-def: $sgpr1
	s_delay_alu instid0(SALU_CYCLE_1) | instskip(NEXT) | instid1(VALU_DEP_1)
	s_mov_b32 s0, exec_lo
	v_cmpx_gt_u32_e32 8, v16
	s_xor_b32 s6, exec_lo, s0
	s_cbranch_execz .LBB1_177
; %bb.172:                              ;   in Loop: Header=BB1_147 Depth=1
	v_mov_b32_e32 v24, 0
	v_mov_b32_e32 v25, 0
	s_mov_b32 s7, exec_lo
	v_cmpx_ne_u32_e32 0, v16
	s_cbranch_execz .LBB1_176
; %bb.173:                              ;   in Loop: Header=BB1_147 Depth=1
	v_mov_b32_e32 v24, 0
	v_mov_b32_e32 v25, 0
	s_mov_b64 s[0:1], 0
	s_mov_b32 s13, 0
	s_mov_b64 s[4:5], 0
	.p2align	6
.LBB1_174:                              ;   Parent Loop BB1_147 Depth=1
                                        ; =>  This Inner Loop Header: Depth=2
	s_delay_alu instid0(SALU_CYCLE_1)
	v_add_co_u32 v26, vcc_lo, v11, s4
	v_add_co_ci_u32_e32 v27, vcc_lo, s5, v12, vcc_lo
	s_add_u32 s4, s4, 1
	s_addc_u32 s5, s5, 0
	v_cmp_eq_u32_e32 vcc_lo, s4, v16
	flat_load_u8 v17, v[26:27]
	s_waitcnt vmcnt(0) lgkmcnt(0)
	v_dual_mov_b32 v27, s12 :: v_dual_and_b32 v26, 0xffff, v17
	s_delay_alu instid0(VALU_DEP_1) | instskip(SKIP_3) | instid1(VALU_DEP_1)
	v_lshlrev_b64 v[26:27], s0, v[26:27]
	s_add_u32 s0, s0, 8
	s_addc_u32 s1, s1, 0
	s_or_b32 s13, vcc_lo, s13
	v_or_b32_e32 v25, v27, v25
	s_delay_alu instid0(VALU_DEP_2)
	v_or_b32_e32 v24, v26, v24
	s_and_not1_b32 exec_lo, exec_lo, s13
	s_cbranch_execnz .LBB1_174
; %bb.175:                              ;   in Loop: Header=BB1_147 Depth=1
	s_or_b32 exec_lo, exec_lo, s13
.LBB1_176:                              ;   in Loop: Header=BB1_147 Depth=1
	s_delay_alu instid0(SALU_CYCLE_1)
	s_or_b32 exec_lo, exec_lo, s7
	s_mov_b32 s1, 0
                                        ; implicit-def: $vgpr16
.LBB1_177:                              ;   in Loop: Header=BB1_147 Depth=1
	s_or_saveexec_b32 s0, s6
	v_mov_b32_e32 v17, s1
	s_xor_b32 exec_lo, exec_lo, s0
	s_cbranch_execz .LBB1_179
; %bb.178:                              ;   in Loop: Header=BB1_147 Depth=1
	flat_load_b64 v[24:25], v[11:12]
	v_add_co_u32 v11, vcc_lo, v11, 8
	v_add_co_ci_u32_e32 v12, vcc_lo, 0, v12, vcc_lo
	s_waitcnt vmcnt(0) lgkmcnt(0)
	v_and_b32_e32 v17, 0xff, v25
	v_and_b32_e32 v26, 0xff00, v25
	;; [unrolled: 1-line block ×4, first 2 shown]
	v_or3_b32 v24, v24, 0, 0
	s_delay_alu instid0(VALU_DEP_4) | instskip(SKIP_1) | instid1(VALU_DEP_2)
	v_or_b32_e32 v26, v17, v26
	v_add_nc_u32_e32 v17, -8, v16
	v_or3_b32 v25, v26, v27, v25
.LBB1_179:                              ;   in Loop: Header=BB1_147 Depth=1
	s_or_b32 exec_lo, exec_lo, s0
                                        ; implicit-def: $sgpr1
	s_delay_alu instid0(SALU_CYCLE_1) | instskip(NEXT) | instid1(VALU_DEP_1)
	s_mov_b32 s0, exec_lo
	v_cmpx_gt_u32_e32 8, v17
	s_xor_b32 s6, exec_lo, s0
	s_cbranch_execz .LBB1_185
; %bb.180:                              ;   in Loop: Header=BB1_147 Depth=1
	v_mov_b32_e32 v26, 0
	v_mov_b32_e32 v27, 0
	s_mov_b32 s7, exec_lo
	v_cmpx_ne_u32_e32 0, v17
	s_cbranch_execz .LBB1_184
; %bb.181:                              ;   in Loop: Header=BB1_147 Depth=1
	v_mov_b32_e32 v26, 0
	v_mov_b32_e32 v27, 0
	s_mov_b64 s[0:1], 0
	s_mov_b32 s13, 0
	s_mov_b64 s[4:5], 0
	.p2align	6
.LBB1_182:                              ;   Parent Loop BB1_147 Depth=1
                                        ; =>  This Inner Loop Header: Depth=2
	s_delay_alu instid0(SALU_CYCLE_1)
	v_add_co_u32 v28, vcc_lo, v11, s4
	v_add_co_ci_u32_e32 v29, vcc_lo, s5, v12, vcc_lo
	s_add_u32 s4, s4, 1
	s_addc_u32 s5, s5, 0
	v_cmp_eq_u32_e32 vcc_lo, s4, v17
	flat_load_u8 v16, v[28:29]
	s_waitcnt vmcnt(0) lgkmcnt(0)
	v_dual_mov_b32 v29, s12 :: v_dual_and_b32 v28, 0xffff, v16
	s_delay_alu instid0(VALU_DEP_1) | instskip(SKIP_3) | instid1(VALU_DEP_1)
	v_lshlrev_b64 v[28:29], s0, v[28:29]
	s_add_u32 s0, s0, 8
	s_addc_u32 s1, s1, 0
	s_or_b32 s13, vcc_lo, s13
	v_or_b32_e32 v27, v29, v27
	s_delay_alu instid0(VALU_DEP_2)
	v_or_b32_e32 v26, v28, v26
	s_and_not1_b32 exec_lo, exec_lo, s13
	s_cbranch_execnz .LBB1_182
; %bb.183:                              ;   in Loop: Header=BB1_147 Depth=1
	s_or_b32 exec_lo, exec_lo, s13
.LBB1_184:                              ;   in Loop: Header=BB1_147 Depth=1
	s_delay_alu instid0(SALU_CYCLE_1)
	s_or_b32 exec_lo, exec_lo, s7
	s_mov_b32 s1, 0
                                        ; implicit-def: $vgpr17
.LBB1_185:                              ;   in Loop: Header=BB1_147 Depth=1
	s_or_saveexec_b32 s0, s6
	v_mov_b32_e32 v16, s1
	s_xor_b32 exec_lo, exec_lo, s0
	s_cbranch_execz .LBB1_187
; %bb.186:                              ;   in Loop: Header=BB1_147 Depth=1
	flat_load_b64 v[26:27], v[11:12]
	v_add_co_u32 v11, vcc_lo, v11, 8
	v_add_co_ci_u32_e32 v12, vcc_lo, 0, v12, vcc_lo
	s_waitcnt vmcnt(0) lgkmcnt(0)
	v_and_b32_e32 v16, 0xff, v27
	v_and_b32_e32 v28, 0xff00, v27
	;; [unrolled: 1-line block ×4, first 2 shown]
	v_or3_b32 v26, v26, 0, 0
	s_delay_alu instid0(VALU_DEP_4) | instskip(SKIP_1) | instid1(VALU_DEP_2)
	v_or_b32_e32 v28, v16, v28
	v_add_nc_u32_e32 v16, -8, v17
	v_or3_b32 v27, v28, v29, v27
.LBB1_187:                              ;   in Loop: Header=BB1_147 Depth=1
	s_or_b32 exec_lo, exec_lo, s0
                                        ; implicit-def: $vgpr28_vgpr29
                                        ; implicit-def: $sgpr1
	s_delay_alu instid0(SALU_CYCLE_1) | instskip(NEXT) | instid1(VALU_DEP_1)
	s_mov_b32 s0, exec_lo
	v_cmpx_gt_u32_e32 8, v16
	s_xor_b32 s6, exec_lo, s0
	s_cbranch_execz .LBB1_193
; %bb.188:                              ;   in Loop: Header=BB1_147 Depth=1
	v_mov_b32_e32 v28, 0
	v_mov_b32_e32 v29, 0
	s_mov_b32 s7, exec_lo
	v_cmpx_ne_u32_e32 0, v16
	s_cbranch_execz .LBB1_192
; %bb.189:                              ;   in Loop: Header=BB1_147 Depth=1
	v_mov_b32_e32 v28, 0
	v_mov_b32_e32 v29, 0
	s_mov_b64 s[0:1], 0
	s_mov_b32 s13, 0
	s_mov_b64 s[4:5], 0
	.p2align	6
.LBB1_190:                              ;   Parent Loop BB1_147 Depth=1
                                        ; =>  This Inner Loop Header: Depth=2
	s_delay_alu instid0(SALU_CYCLE_1)
	v_add_co_u32 v30, vcc_lo, v11, s4
	v_add_co_ci_u32_e32 v31, vcc_lo, s5, v12, vcc_lo
	s_add_u32 s4, s4, 1
	s_addc_u32 s5, s5, 0
	v_cmp_eq_u32_e32 vcc_lo, s4, v16
	flat_load_u8 v17, v[30:31]
	s_waitcnt vmcnt(0) lgkmcnt(0)
	v_dual_mov_b32 v31, s12 :: v_dual_and_b32 v30, 0xffff, v17
	s_delay_alu instid0(VALU_DEP_1) | instskip(SKIP_3) | instid1(VALU_DEP_1)
	v_lshlrev_b64 v[30:31], s0, v[30:31]
	s_add_u32 s0, s0, 8
	s_addc_u32 s1, s1, 0
	s_or_b32 s13, vcc_lo, s13
	v_or_b32_e32 v29, v31, v29
	s_delay_alu instid0(VALU_DEP_2)
	v_or_b32_e32 v28, v30, v28
	s_and_not1_b32 exec_lo, exec_lo, s13
	s_cbranch_execnz .LBB1_190
; %bb.191:                              ;   in Loop: Header=BB1_147 Depth=1
	s_or_b32 exec_lo, exec_lo, s13
.LBB1_192:                              ;   in Loop: Header=BB1_147 Depth=1
	s_delay_alu instid0(SALU_CYCLE_1)
	s_or_b32 exec_lo, exec_lo, s7
	s_mov_b32 s1, 0
                                        ; implicit-def: $vgpr16
.LBB1_193:                              ;   in Loop: Header=BB1_147 Depth=1
	s_or_saveexec_b32 s0, s6
	v_mov_b32_e32 v17, s1
	s_xor_b32 exec_lo, exec_lo, s0
	s_cbranch_execz .LBB1_195
; %bb.194:                              ;   in Loop: Header=BB1_147 Depth=1
	flat_load_b64 v[28:29], v[11:12]
	v_add_co_u32 v11, vcc_lo, v11, 8
	v_add_co_ci_u32_e32 v12, vcc_lo, 0, v12, vcc_lo
	s_waitcnt vmcnt(0) lgkmcnt(0)
	v_and_b32_e32 v17, 0xff, v29
	v_and_b32_e32 v30, 0xff00, v29
	;; [unrolled: 1-line block ×4, first 2 shown]
	v_or3_b32 v28, v28, 0, 0
	s_delay_alu instid0(VALU_DEP_4) | instskip(SKIP_1) | instid1(VALU_DEP_2)
	v_or_b32_e32 v30, v17, v30
	v_add_nc_u32_e32 v17, -8, v16
	v_or3_b32 v29, v30, v31, v29
.LBB1_195:                              ;   in Loop: Header=BB1_147 Depth=1
	s_or_b32 exec_lo, exec_lo, s0
	s_delay_alu instid0(SALU_CYCLE_1) | instskip(NEXT) | instid1(VALU_DEP_1)
	s_mov_b32 s0, exec_lo
	v_cmpx_gt_u32_e32 8, v17
	s_xor_b32 s4, exec_lo, s0
	s_cbranch_execz .LBB1_201
; %bb.196:                              ;   in Loop: Header=BB1_147 Depth=1
	v_mov_b32_e32 v30, 0
	v_mov_b32_e32 v31, 0
	s_mov_b32 s5, exec_lo
	v_cmpx_ne_u32_e32 0, v17
	s_cbranch_execz .LBB1_200
; %bb.197:                              ;   in Loop: Header=BB1_147 Depth=1
	v_mov_b32_e32 v30, 0
	v_mov_b32_e32 v31, 0
	s_mov_b64 s[0:1], 0
	s_mov_b32 s6, 0
	.p2align	6
.LBB1_198:                              ;   Parent Loop BB1_147 Depth=1
                                        ; =>  This Inner Loop Header: Depth=2
	flat_load_u8 v16, v[11:12]
	v_mov_b32_e32 v33, s12
	v_add_nc_u32_e32 v17, -1, v17
	v_add_co_u32 v11, vcc_lo, v11, 1
	v_add_co_ci_u32_e32 v12, vcc_lo, 0, v12, vcc_lo
	s_delay_alu instid0(VALU_DEP_3) | instskip(SKIP_2) | instid1(VALU_DEP_1)
	v_cmp_eq_u32_e32 vcc_lo, 0, v17
	s_waitcnt vmcnt(0) lgkmcnt(0)
	v_and_b32_e32 v32, 0xffff, v16
	v_lshlrev_b64 v[32:33], s0, v[32:33]
	s_add_u32 s0, s0, 8
	s_addc_u32 s1, s1, 0
	s_or_b32 s6, vcc_lo, s6
	s_delay_alu instid0(VALU_DEP_1) | instskip(NEXT) | instid1(VALU_DEP_2)
	v_or_b32_e32 v31, v33, v31
	v_or_b32_e32 v30, v32, v30
	s_and_not1_b32 exec_lo, exec_lo, s6
	s_cbranch_execnz .LBB1_198
; %bb.199:                              ;   in Loop: Header=BB1_147 Depth=1
	s_or_b32 exec_lo, exec_lo, s6
.LBB1_200:                              ;   in Loop: Header=BB1_147 Depth=1
	s_delay_alu instid0(SALU_CYCLE_1)
	s_or_b32 exec_lo, exec_lo, s5
                                        ; implicit-def: $vgpr11_vgpr12
.LBB1_201:                              ;   in Loop: Header=BB1_147 Depth=1
	s_and_not1_saveexec_b32 s0, s4
	s_cbranch_execz .LBB1_203
; %bb.202:                              ;   in Loop: Header=BB1_147 Depth=1
	flat_load_b64 v[11:12], v[11:12]
	s_waitcnt vmcnt(0) lgkmcnt(0)
	v_and_b32_e32 v16, 0xff, v12
	v_and_b32_e32 v17, 0xff00, v12
	;; [unrolled: 1-line block ×4, first 2 shown]
	s_delay_alu instid0(VALU_DEP_3) | instskip(NEXT) | instid1(VALU_DEP_1)
	v_or_b32_e32 v16, v16, v17
	v_or3_b32 v31, v16, v30, v12
	v_or3_b32 v30, v11, 0, 0
.LBB1_203:                              ;   in Loop: Header=BB1_147 Depth=1
	s_or_b32 exec_lo, exec_lo, s0
	v_readfirstlane_b32 s0, v49
	v_mov_b32_e32 v11, 0
	v_mov_b32_e32 v12, 0
	s_delay_alu instid0(VALU_DEP_3) | instskip(NEXT) | instid1(VALU_DEP_1)
	v_cmp_eq_u32_e64 s0, s0, v49
	s_and_saveexec_b32 s1, s0
	s_cbranch_execz .LBB1_209
; %bb.204:                              ;   in Loop: Header=BB1_147 Depth=1
	global_load_b64 v[34:35], v13, s[2:3] offset:24 glc
	s_waitcnt vmcnt(0)
	buffer_gl1_inv
	buffer_gl0_inv
	s_clause 0x1
	global_load_b64 v[11:12], v13, s[2:3] offset:40
	global_load_b64 v[16:17], v13, s[2:3]
	s_mov_b32 s4, exec_lo
	s_waitcnt vmcnt(1)
	v_and_b32_e32 v12, v12, v35
	v_and_b32_e32 v11, v11, v34
	s_delay_alu instid0(VALU_DEP_2) | instskip(NEXT) | instid1(VALU_DEP_2)
	v_mul_lo_u32 v12, v12, 24
	v_mul_hi_u32 v32, v11, 24
	v_mul_lo_u32 v11, v11, 24
	s_delay_alu instid0(VALU_DEP_2) | instskip(SKIP_1) | instid1(VALU_DEP_2)
	v_add_nc_u32_e32 v12, v32, v12
	s_waitcnt vmcnt(0)
	v_add_co_u32 v11, vcc_lo, v16, v11
	s_delay_alu instid0(VALU_DEP_2)
	v_add_co_ci_u32_e32 v12, vcc_lo, v17, v12, vcc_lo
	global_load_b64 v[32:33], v[11:12], off glc
	s_waitcnt vmcnt(0)
	global_atomic_cmpswap_b64 v[11:12], v13, v[32:35], s[2:3] offset:24 glc
	s_waitcnt vmcnt(0)
	buffer_gl1_inv
	buffer_gl0_inv
	v_cmpx_ne_u64_e64 v[11:12], v[34:35]
	s_cbranch_execz .LBB1_208
; %bb.205:                              ;   in Loop: Header=BB1_147 Depth=1
	s_mov_b32 s5, 0
	.p2align	6
.LBB1_206:                              ;   Parent Loop BB1_147 Depth=1
                                        ; =>  This Inner Loop Header: Depth=2
	s_sleep 1
	s_clause 0x1
	global_load_b64 v[16:17], v13, s[2:3] offset:40
	global_load_b64 v[32:33], v13, s[2:3]
	v_dual_mov_b32 v35, v12 :: v_dual_mov_b32 v34, v11
	s_waitcnt vmcnt(1)
	s_delay_alu instid0(VALU_DEP_1) | instskip(SKIP_1) | instid1(VALU_DEP_1)
	v_and_b32_e32 v16, v16, v34
	s_waitcnt vmcnt(0)
	v_mad_u64_u32 v[11:12], null, v16, 24, v[32:33]
	v_and_b32_e32 v32, v17, v35
	s_delay_alu instid0(VALU_DEP_1) | instskip(NEXT) | instid1(VALU_DEP_1)
	v_mad_u64_u32 v[16:17], null, v32, 24, v[12:13]
	v_mov_b32_e32 v12, v16
	global_load_b64 v[32:33], v[11:12], off glc
	s_waitcnt vmcnt(0)
	global_atomic_cmpswap_b64 v[11:12], v13, v[32:35], s[2:3] offset:24 glc
	s_waitcnt vmcnt(0)
	buffer_gl1_inv
	buffer_gl0_inv
	v_cmp_eq_u64_e32 vcc_lo, v[11:12], v[34:35]
	s_or_b32 s5, vcc_lo, s5
	s_delay_alu instid0(SALU_CYCLE_1)
	s_and_not1_b32 exec_lo, exec_lo, s5
	s_cbranch_execnz .LBB1_206
; %bb.207:                              ;   in Loop: Header=BB1_147 Depth=1
	s_or_b32 exec_lo, exec_lo, s5
.LBB1_208:                              ;   in Loop: Header=BB1_147 Depth=1
	s_delay_alu instid0(SALU_CYCLE_1)
	s_or_b32 exec_lo, exec_lo, s4
.LBB1_209:                              ;   in Loop: Header=BB1_147 Depth=1
	s_delay_alu instid0(SALU_CYCLE_1)
	s_or_b32 exec_lo, exec_lo, s1
	s_clause 0x1
	global_load_b64 v[16:17], v13, s[2:3] offset:40
	global_load_b128 v[32:35], v13, s[2:3]
	v_readfirstlane_b32 s4, v11
	v_readfirstlane_b32 s5, v12
	s_mov_b32 s1, exec_lo
	s_waitcnt vmcnt(1)
	v_readfirstlane_b32 s6, v16
	v_readfirstlane_b32 s7, v17
	s_delay_alu instid0(VALU_DEP_1) | instskip(NEXT) | instid1(SALU_CYCLE_1)
	s_and_b64 s[6:7], s[4:5], s[6:7]
	s_mul_i32 s13, s7, 24
	s_mul_hi_u32 s14, s6, 24
	s_mul_i32 s15, s6, 24
	s_add_i32 s14, s14, s13
	s_waitcnt vmcnt(0)
	v_add_co_u32 v38, vcc_lo, v32, s15
	v_add_co_ci_u32_e32 v39, vcc_lo, s14, v33, vcc_lo
	s_and_saveexec_b32 s13, s0
	s_cbranch_execz .LBB1_211
; %bb.210:                              ;   in Loop: Header=BB1_147 Depth=1
	v_mov_b32_e32 v12, s1
	global_store_b128 v[38:39], v[12:15], off offset:8
.LBB1_211:                              ;   in Loop: Header=BB1_147 Depth=1
	s_or_b32 exec_lo, exec_lo, s13
	v_cmp_lt_u64_e32 vcc_lo, 56, v[0:1]
	v_or_b32_e32 v11, 0, v10
	v_or_b32_e32 v12, v9, v50
	v_lshl_add_u32 v16, v36, 2, 28
	s_lshl_b64 s[6:7], s[6:7], 12
	s_delay_alu instid0(SALU_CYCLE_1) | instskip(NEXT) | instid1(VALU_DEP_1)
	v_add_co_u32 v34, s1, v34, s6
	v_add_co_ci_u32_e64 v35, s1, s7, v35, s1
	s_delay_alu instid0(VALU_DEP_3) | instskip(SKIP_1) | instid1(VALU_DEP_4)
	v_dual_cndmask_b32 v17, v11, v10 :: v_dual_and_b32 v10, 0x1e0, v16
	v_cndmask_b32_e32 v9, v12, v9, vcc_lo
	v_readfirstlane_b32 s6, v34
	s_delay_alu instid0(VALU_DEP_4) | instskip(NEXT) | instid1(VALU_DEP_3)
	v_readfirstlane_b32 s7, v35
	v_and_or_b32 v16, 0xffffff1f, v9, v10
	s_clause 0x3
	global_store_b128 v48, v[16:19], s[6:7]
	global_store_b128 v48, v[20:23], s[6:7] offset:16
	global_store_b128 v48, v[24:27], s[6:7] offset:32
	;; [unrolled: 1-line block ×3, first 2 shown]
	s_and_saveexec_b32 s1, s0
	s_cbranch_execz .LBB1_219
; %bb.212:                              ;   in Loop: Header=BB1_147 Depth=1
	s_clause 0x1
	global_load_b64 v[20:21], v13, s[2:3] offset:32 glc
	global_load_b64 v[9:10], v13, s[2:3] offset:40
	v_dual_mov_b32 v18, s4 :: v_dual_mov_b32 v19, s5
	s_waitcnt vmcnt(0)
	v_readfirstlane_b32 s6, v9
	v_readfirstlane_b32 s7, v10
	s_delay_alu instid0(VALU_DEP_1) | instskip(NEXT) | instid1(SALU_CYCLE_1)
	s_and_b64 s[6:7], s[6:7], s[4:5]
	s_mul_i32 s7, s7, 24
	s_mul_hi_u32 s13, s6, 24
	s_mul_i32 s6, s6, 24
	s_add_i32 s13, s13, s7
	v_add_co_u32 v16, vcc_lo, v32, s6
	v_add_co_ci_u32_e32 v17, vcc_lo, s13, v33, vcc_lo
	s_mov_b32 s6, exec_lo
	global_store_b64 v[16:17], v[20:21], off
	s_waitcnt_vscnt null, 0x0
	global_atomic_cmpswap_b64 v[11:12], v13, v[18:21], s[2:3] offset:32 glc
	s_waitcnt vmcnt(0)
	v_cmpx_ne_u64_e64 v[11:12], v[20:21]
	s_cbranch_execz .LBB1_215
; %bb.213:                              ;   in Loop: Header=BB1_147 Depth=1
	s_mov_b32 s7, 0
.LBB1_214:                              ;   Parent Loop BB1_147 Depth=1
                                        ; =>  This Inner Loop Header: Depth=2
	v_dual_mov_b32 v9, s4 :: v_dual_mov_b32 v10, s5
	s_sleep 1
	global_store_b64 v[16:17], v[11:12], off
	s_waitcnt_vscnt null, 0x0
	global_atomic_cmpswap_b64 v[9:10], v13, v[9:12], s[2:3] offset:32 glc
	s_waitcnt vmcnt(0)
	v_cmp_eq_u64_e32 vcc_lo, v[9:10], v[11:12]
	v_dual_mov_b32 v12, v10 :: v_dual_mov_b32 v11, v9
	s_or_b32 s7, vcc_lo, s7
	s_delay_alu instid0(SALU_CYCLE_1)
	s_and_not1_b32 exec_lo, exec_lo, s7
	s_cbranch_execnz .LBB1_214
.LBB1_215:                              ;   in Loop: Header=BB1_147 Depth=1
	s_or_b32 exec_lo, exec_lo, s6
	global_load_b64 v[9:10], v13, s[2:3] offset:16
	s_mov_b32 s7, exec_lo
	s_mov_b32 s6, exec_lo
	v_mbcnt_lo_u32_b32 v11, s7, 0
	s_delay_alu instid0(VALU_DEP_1)
	v_cmpx_eq_u32_e32 0, v11
	s_cbranch_execz .LBB1_217
; %bb.216:                              ;   in Loop: Header=BB1_147 Depth=1
	s_bcnt1_i32_b32 s7, s7
	s_delay_alu instid0(SALU_CYCLE_1)
	v_mov_b32_e32 v12, s7
	s_waitcnt vmcnt(0)
	global_atomic_add_u64 v[9:10], v[12:13], off offset:8
.LBB1_217:                              ;   in Loop: Header=BB1_147 Depth=1
	s_or_b32 exec_lo, exec_lo, s6
	s_waitcnt vmcnt(0)
	global_load_b64 v[16:17], v[9:10], off offset:16
	s_waitcnt vmcnt(0)
	v_cmp_eq_u64_e32 vcc_lo, 0, v[16:17]
	s_cbranch_vccnz .LBB1_219
; %bb.218:                              ;   in Loop: Header=BB1_147 Depth=1
	global_load_b32 v12, v[9:10], off offset:24
	s_waitcnt vmcnt(0)
	v_and_b32_e32 v9, 0xffffff, v12
	s_waitcnt_vscnt null, 0x0
	global_store_b64 v[16:17], v[12:13], off
	v_readfirstlane_b32 m0, v9
	s_sendmsg sendmsg(MSG_INTERRUPT)
.LBB1_219:                              ;   in Loop: Header=BB1_147 Depth=1
	s_or_b32 exec_lo, exec_lo, s1
	v_add_co_u32 v9, vcc_lo, v34, v48
	v_add_co_ci_u32_e32 v10, vcc_lo, 0, v35, vcc_lo
	s_branch .LBB1_223
	.p2align	6
.LBB1_220:                              ;   in Loop: Header=BB1_223 Depth=2
	s_or_b32 exec_lo, exec_lo, s1
	s_delay_alu instid0(VALU_DEP_1) | instskip(NEXT) | instid1(VALU_DEP_1)
	v_readfirstlane_b32 s1, v11
	s_cmp_eq_u32 s1, 0
	s_cbranch_scc1 .LBB1_222
; %bb.221:                              ;   in Loop: Header=BB1_223 Depth=2
	s_sleep 1
	s_cbranch_execnz .LBB1_223
	s_branch .LBB1_225
	.p2align	6
.LBB1_222:                              ;   in Loop: Header=BB1_147 Depth=1
	s_branch .LBB1_225
.LBB1_223:                              ;   Parent Loop BB1_147 Depth=1
                                        ; =>  This Inner Loop Header: Depth=2
	v_mov_b32_e32 v11, 1
	s_and_saveexec_b32 s1, s0
	s_cbranch_execz .LBB1_220
; %bb.224:                              ;   in Loop: Header=BB1_223 Depth=2
	global_load_b32 v11, v[38:39], off offset:20 glc
	s_waitcnt vmcnt(0)
	buffer_gl1_inv
	buffer_gl0_inv
	v_and_b32_e32 v11, 1, v11
	s_branch .LBB1_220
.LBB1_225:                              ;   in Loop: Header=BB1_147 Depth=1
	global_load_b128 v[9:12], v[9:10], off
	s_and_saveexec_b32 s1, s0
	s_cbranch_execz .LBB1_146
; %bb.226:                              ;   in Loop: Header=BB1_147 Depth=1
	s_clause 0x2
	global_load_b64 v[11:12], v13, s[2:3] offset:40
	global_load_b64 v[20:21], v13, s[2:3] offset:24 glc
	global_load_b64 v[18:19], v13, s[2:3]
	s_waitcnt vmcnt(2)
	v_add_co_u32 v22, vcc_lo, v11, 1
	v_add_co_ci_u32_e32 v23, vcc_lo, 0, v12, vcc_lo
	s_delay_alu instid0(VALU_DEP_2) | instskip(NEXT) | instid1(VALU_DEP_2)
	v_add_co_u32 v16, vcc_lo, v22, s4
	v_add_co_ci_u32_e32 v17, vcc_lo, s5, v23, vcc_lo
	s_delay_alu instid0(VALU_DEP_1) | instskip(SKIP_1) | instid1(VALU_DEP_1)
	v_cmp_eq_u64_e32 vcc_lo, 0, v[16:17]
	v_dual_cndmask_b32 v17, v17, v23 :: v_dual_cndmask_b32 v16, v16, v22
	v_and_b32_e32 v12, v17, v12
	s_delay_alu instid0(VALU_DEP_2) | instskip(NEXT) | instid1(VALU_DEP_2)
	v_and_b32_e32 v11, v16, v11
	v_mul_lo_u32 v12, v12, 24
	s_delay_alu instid0(VALU_DEP_2) | instskip(SKIP_1) | instid1(VALU_DEP_2)
	v_mul_hi_u32 v22, v11, 24
	v_mul_lo_u32 v11, v11, 24
	v_add_nc_u32_e32 v12, v22, v12
	s_waitcnt vmcnt(0)
	s_delay_alu instid0(VALU_DEP_2) | instskip(SKIP_1) | instid1(VALU_DEP_3)
	v_add_co_u32 v11, vcc_lo, v18, v11
	v_mov_b32_e32 v18, v20
	v_add_co_ci_u32_e32 v12, vcc_lo, v19, v12, vcc_lo
	v_mov_b32_e32 v19, v21
	global_store_b64 v[11:12], v[20:21], off
	s_waitcnt_vscnt null, 0x0
	global_atomic_cmpswap_b64 v[18:19], v13, v[16:19], s[2:3] offset:24 glc
	s_waitcnt vmcnt(0)
	v_cmp_ne_u64_e32 vcc_lo, v[18:19], v[20:21]
	s_and_b32 exec_lo, exec_lo, vcc_lo
	s_cbranch_execz .LBB1_146
; %bb.227:                              ;   in Loop: Header=BB1_147 Depth=1
	s_mov_b32 s0, 0
.LBB1_228:                              ;   Parent Loop BB1_147 Depth=1
                                        ; =>  This Inner Loop Header: Depth=2
	s_sleep 1
	global_store_b64 v[11:12], v[18:19], off
	s_waitcnt_vscnt null, 0x0
	global_atomic_cmpswap_b64 v[20:21], v13, v[16:19], s[2:3] offset:24 glc
	s_waitcnt vmcnt(0)
	v_cmp_eq_u64_e32 vcc_lo, v[20:21], v[18:19]
	v_dual_mov_b32 v18, v20 :: v_dual_mov_b32 v19, v21
	s_or_b32 s0, vcc_lo, s0
	s_delay_alu instid0(SALU_CYCLE_1)
	s_and_not1_b32 exec_lo, exec_lo, s0
	s_cbranch_execnz .LBB1_228
	s_branch .LBB1_146
.LBB1_229:
	s_or_b32 exec_lo, exec_lo, s11
.LBB1_230:
	s_and_not1_saveexec_b32 s1, s10
	s_cbranch_execz .LBB1_258
; %bb.231:
	v_readfirstlane_b32 s0, v49
	s_waitcnt vmcnt(0)
	v_mov_b32_e32 v12, 0
	v_mov_b32_e32 v13, 0
	s_delay_alu instid0(VALU_DEP_3) | instskip(NEXT) | instid1(VALU_DEP_1)
	v_cmp_eq_u32_e64 s0, s0, v49
	s_and_saveexec_b32 s4, s0
	s_cbranch_execz .LBB1_237
; %bb.232:
	v_mov_b32_e32 v0, 0
	s_mov_b32 s5, exec_lo
	global_load_b64 v[14:15], v0, s[2:3] offset:24 glc
	s_waitcnt vmcnt(0)
	buffer_gl1_inv
	buffer_gl0_inv
	s_clause 0x1
	global_load_b64 v[1:2], v0, s[2:3] offset:40
	global_load_b64 v[11:12], v0, s[2:3]
	s_waitcnt vmcnt(1)
	v_and_b32_e32 v1, v1, v14
	v_and_b32_e32 v2, v2, v15
	s_delay_alu instid0(VALU_DEP_2) | instskip(NEXT) | instid1(VALU_DEP_2)
	v_mul_hi_u32 v3, v1, 24
	v_mul_lo_u32 v2, v2, 24
	v_mul_lo_u32 v1, v1, 24
	s_delay_alu instid0(VALU_DEP_2) | instskip(SKIP_1) | instid1(VALU_DEP_2)
	v_add_nc_u32_e32 v2, v3, v2
	s_waitcnt vmcnt(0)
	v_add_co_u32 v1, vcc_lo, v11, v1
	s_delay_alu instid0(VALU_DEP_2)
	v_add_co_ci_u32_e32 v2, vcc_lo, v12, v2, vcc_lo
	global_load_b64 v[12:13], v[1:2], off glc
	s_waitcnt vmcnt(0)
	global_atomic_cmpswap_b64 v[12:13], v0, v[12:15], s[2:3] offset:24 glc
	s_waitcnt vmcnt(0)
	buffer_gl1_inv
	buffer_gl0_inv
	v_cmpx_ne_u64_e64 v[12:13], v[14:15]
	s_cbranch_execz .LBB1_236
; %bb.233:
	s_mov_b32 s6, 0
	.p2align	6
.LBB1_234:                              ; =>This Inner Loop Header: Depth=1
	s_sleep 1
	s_clause 0x1
	global_load_b64 v[1:2], v0, s[2:3] offset:40
	global_load_b64 v[16:17], v0, s[2:3]
	v_dual_mov_b32 v15, v13 :: v_dual_mov_b32 v14, v12
	s_waitcnt vmcnt(1)
	s_delay_alu instid0(VALU_DEP_1) | instskip(NEXT) | instid1(VALU_DEP_2)
	v_and_b32_e32 v1, v1, v14
	v_and_b32_e32 v13, v2, v15
	s_waitcnt vmcnt(0)
	s_delay_alu instid0(VALU_DEP_2) | instskip(NEXT) | instid1(VALU_DEP_1)
	v_mad_u64_u32 v[11:12], null, v1, 24, v[16:17]
	v_mov_b32_e32 v1, v12
	s_delay_alu instid0(VALU_DEP_1) | instskip(NEXT) | instid1(VALU_DEP_1)
	v_mad_u64_u32 v[2:3], null, v13, 24, v[1:2]
	v_mov_b32_e32 v12, v2
	global_load_b64 v[12:13], v[11:12], off glc
	s_waitcnt vmcnt(0)
	global_atomic_cmpswap_b64 v[12:13], v0, v[12:15], s[2:3] offset:24 glc
	s_waitcnt vmcnt(0)
	buffer_gl1_inv
	buffer_gl0_inv
	v_cmp_eq_u64_e32 vcc_lo, v[12:13], v[14:15]
	s_or_b32 s6, vcc_lo, s6
	s_delay_alu instid0(SALU_CYCLE_1)
	s_and_not1_b32 exec_lo, exec_lo, s6
	s_cbranch_execnz .LBB1_234
; %bb.235:
	s_or_b32 exec_lo, exec_lo, s6
.LBB1_236:
	s_delay_alu instid0(SALU_CYCLE_1)
	s_or_b32 exec_lo, exec_lo, s5
.LBB1_237:
	s_delay_alu instid0(SALU_CYCLE_1)
	s_or_b32 exec_lo, exec_lo, s4
	v_mov_b32_e32 v11, 0
	v_readfirstlane_b32 s4, v12
	v_readfirstlane_b32 s5, v13
	s_mov_b32 s10, exec_lo
	s_clause 0x1
	global_load_b64 v[14:15], v11, s[2:3] offset:40
	global_load_b128 v[0:3], v11, s[2:3]
	s_waitcnt vmcnt(1)
	v_readfirstlane_b32 s6, v14
	v_readfirstlane_b32 s7, v15
	s_delay_alu instid0(VALU_DEP_1) | instskip(NEXT) | instid1(SALU_CYCLE_1)
	s_and_b64 s[6:7], s[4:5], s[6:7]
	s_mul_i32 s11, s7, 24
	s_mul_hi_u32 s12, s6, 24
	s_mul_i32 s13, s6, 24
	s_add_i32 s12, s12, s11
	s_waitcnt vmcnt(0)
	v_add_co_u32 v13, vcc_lo, v0, s13
	v_add_co_ci_u32_e32 v14, vcc_lo, s12, v1, vcc_lo
	s_and_saveexec_b32 s11, s0
	s_cbranch_execz .LBB1_239
; %bb.238:
	v_dual_mov_b32 v15, s10 :: v_dual_mov_b32 v16, v11
	v_dual_mov_b32 v17, 2 :: v_dual_mov_b32 v18, 1
	global_store_b128 v[13:14], v[15:18], off offset:8
.LBB1_239:
	s_or_b32 exec_lo, exec_lo, s11
	s_lshl_b64 s[6:7], s[6:7], 12
	s_mov_b32 s12, 0
	v_add_co_u32 v2, vcc_lo, v2, s6
	v_add_co_ci_u32_e32 v3, vcc_lo, s7, v3, vcc_lo
	s_mov_b32 s15, s12
	s_delay_alu instid0(VALU_DEP_2)
	v_add_co_u32 v15, vcc_lo, v2, v48
	s_mov_b32 s13, s12
	s_mov_b32 s14, s12
	v_and_or_b32 v9, 0xffffff1f, v9, 32
	v_mov_b32_e32 v12, v11
	v_readfirstlane_b32 s6, v2
	v_readfirstlane_b32 s7, v3
	v_dual_mov_b32 v20, s15 :: v_dual_mov_b32 v17, s12
	v_add_co_ci_u32_e32 v16, vcc_lo, 0, v3, vcc_lo
	v_dual_mov_b32 v19, s14 :: v_dual_mov_b32 v18, s13
	s_clause 0x3
	global_store_b128 v48, v[9:12], s[6:7]
	global_store_b128 v48, v[17:20], s[6:7] offset:16
	global_store_b128 v48, v[17:20], s[6:7] offset:32
	;; [unrolled: 1-line block ×3, first 2 shown]
	s_and_saveexec_b32 s6, s0
	s_cbranch_execz .LBB1_247
; %bb.240:
	v_dual_mov_b32 v11, 0 :: v_dual_mov_b32 v18, s5
	v_mov_b32_e32 v17, s4
	s_clause 0x1
	global_load_b64 v[19:20], v11, s[2:3] offset:32 glc
	global_load_b64 v[2:3], v11, s[2:3] offset:40
	s_waitcnt vmcnt(0)
	v_readfirstlane_b32 s10, v2
	v_readfirstlane_b32 s11, v3
	s_delay_alu instid0(VALU_DEP_1) | instskip(NEXT) | instid1(SALU_CYCLE_1)
	s_and_b64 s[10:11], s[10:11], s[4:5]
	s_mul_i32 s7, s11, 24
	s_mul_hi_u32 s11, s10, 24
	s_mul_i32 s10, s10, 24
	s_add_i32 s11, s11, s7
	v_add_co_u32 v9, vcc_lo, v0, s10
	v_add_co_ci_u32_e32 v10, vcc_lo, s11, v1, vcc_lo
	s_mov_b32 s7, exec_lo
	global_store_b64 v[9:10], v[19:20], off
	s_waitcnt_vscnt null, 0x0
	global_atomic_cmpswap_b64 v[2:3], v11, v[17:20], s[2:3] offset:32 glc
	s_waitcnt vmcnt(0)
	v_cmpx_ne_u64_e64 v[2:3], v[19:20]
	s_cbranch_execz .LBB1_243
; %bb.241:
	s_mov_b32 s10, 0
.LBB1_242:                              ; =>This Inner Loop Header: Depth=1
	v_dual_mov_b32 v0, s4 :: v_dual_mov_b32 v1, s5
	s_sleep 1
	global_store_b64 v[9:10], v[2:3], off
	s_waitcnt_vscnt null, 0x0
	global_atomic_cmpswap_b64 v[0:1], v11, v[0:3], s[2:3] offset:32 glc
	s_waitcnt vmcnt(0)
	v_cmp_eq_u64_e32 vcc_lo, v[0:1], v[2:3]
	v_dual_mov_b32 v3, v1 :: v_dual_mov_b32 v2, v0
	s_or_b32 s10, vcc_lo, s10
	s_delay_alu instid0(SALU_CYCLE_1)
	s_and_not1_b32 exec_lo, exec_lo, s10
	s_cbranch_execnz .LBB1_242
.LBB1_243:
	s_or_b32 exec_lo, exec_lo, s7
	v_mov_b32_e32 v3, 0
	s_mov_b32 s10, exec_lo
	s_mov_b32 s7, exec_lo
	v_mbcnt_lo_u32_b32 v2, s10, 0
	global_load_b64 v[0:1], v3, s[2:3] offset:16
	v_cmpx_eq_u32_e32 0, v2
	s_cbranch_execz .LBB1_245
; %bb.244:
	s_bcnt1_i32_b32 s10, s10
	s_delay_alu instid0(SALU_CYCLE_1)
	v_mov_b32_e32 v2, s10
	s_waitcnt vmcnt(0)
	global_atomic_add_u64 v[0:1], v[2:3], off offset:8
.LBB1_245:
	s_or_b32 exec_lo, exec_lo, s7
	s_waitcnt vmcnt(0)
	global_load_b64 v[2:3], v[0:1], off offset:16
	s_waitcnt vmcnt(0)
	v_cmp_eq_u64_e32 vcc_lo, 0, v[2:3]
	s_cbranch_vccnz .LBB1_247
; %bb.246:
	global_load_b32 v0, v[0:1], off offset:24
	v_mov_b32_e32 v1, 0
	s_waitcnt vmcnt(0)
	v_and_b32_e32 v9, 0xffffff, v0
	s_waitcnt_vscnt null, 0x0
	global_store_b64 v[2:3], v[0:1], off
	v_readfirstlane_b32 m0, v9
	s_sendmsg sendmsg(MSG_INTERRUPT)
.LBB1_247:
	s_or_b32 exec_lo, exec_lo, s6
	s_branch .LBB1_251
	.p2align	6
.LBB1_248:                              ;   in Loop: Header=BB1_251 Depth=1
	s_or_b32 exec_lo, exec_lo, s6
	s_delay_alu instid0(VALU_DEP_1) | instskip(NEXT) | instid1(VALU_DEP_1)
	v_readfirstlane_b32 s6, v0
	s_cmp_eq_u32 s6, 0
	s_cbranch_scc1 .LBB1_250
; %bb.249:                              ;   in Loop: Header=BB1_251 Depth=1
	s_sleep 1
	s_cbranch_execnz .LBB1_251
	s_branch .LBB1_253
	.p2align	6
.LBB1_250:
	s_branch .LBB1_253
.LBB1_251:                              ; =>This Inner Loop Header: Depth=1
	v_mov_b32_e32 v0, 1
	s_and_saveexec_b32 s6, s0
	s_cbranch_execz .LBB1_248
; %bb.252:                              ;   in Loop: Header=BB1_251 Depth=1
	global_load_b32 v0, v[13:14], off offset:20 glc
	s_waitcnt vmcnt(0)
	buffer_gl1_inv
	buffer_gl0_inv
	v_and_b32_e32 v0, 1, v0
	s_branch .LBB1_248
.LBB1_253:
	global_load_b64 v[9:10], v[15:16], off
	s_and_saveexec_b32 s6, s0
	s_cbranch_execz .LBB1_257
; %bb.254:
	v_mov_b32_e32 v13, 0
	s_clause 0x2
	global_load_b64 v[2:3], v13, s[2:3] offset:40
	global_load_b64 v[14:15], v13, s[2:3] offset:24 glc
	global_load_b64 v[11:12], v13, s[2:3]
	s_waitcnt vmcnt(2)
	v_add_co_u32 v16, vcc_lo, v2, 1
	v_add_co_ci_u32_e32 v17, vcc_lo, 0, v3, vcc_lo
	s_delay_alu instid0(VALU_DEP_2) | instskip(NEXT) | instid1(VALU_DEP_2)
	v_add_co_u32 v0, vcc_lo, v16, s4
	v_add_co_ci_u32_e32 v1, vcc_lo, s5, v17, vcc_lo
	s_delay_alu instid0(VALU_DEP_1) | instskip(SKIP_1) | instid1(VALU_DEP_1)
	v_cmp_eq_u64_e32 vcc_lo, 0, v[0:1]
	v_dual_cndmask_b32 v0, v0, v16 :: v_dual_cndmask_b32 v1, v1, v17
	v_and_b32_e32 v2, v0, v2
	s_delay_alu instid0(VALU_DEP_2) | instskip(NEXT) | instid1(VALU_DEP_2)
	v_and_b32_e32 v3, v1, v3
	v_mul_hi_u32 v16, v2, 24
	v_mul_lo_u32 v2, v2, 24
	s_waitcnt vmcnt(0)
	s_delay_alu instid0(VALU_DEP_1) | instskip(SKIP_2) | instid1(VALU_DEP_1)
	v_add_co_u32 v11, vcc_lo, v11, v2
	v_mov_b32_e32 v2, v14
	v_mul_lo_u32 v3, v3, 24
	v_add_nc_u32_e32 v3, v16, v3
	s_delay_alu instid0(VALU_DEP_1)
	v_add_co_ci_u32_e32 v12, vcc_lo, v12, v3, vcc_lo
	v_mov_b32_e32 v3, v15
	global_store_b64 v[11:12], v[14:15], off
	s_waitcnt_vscnt null, 0x0
	global_atomic_cmpswap_b64 v[2:3], v13, v[0:3], s[2:3] offset:24 glc
	s_waitcnt vmcnt(0)
	v_cmp_ne_u64_e32 vcc_lo, v[2:3], v[14:15]
	s_and_b32 exec_lo, exec_lo, vcc_lo
	s_cbranch_execz .LBB1_257
; %bb.255:
	s_mov_b32 s0, 0
.LBB1_256:                              ; =>This Inner Loop Header: Depth=1
	s_sleep 1
	global_store_b64 v[11:12], v[2:3], off
	s_waitcnt_vscnt null, 0x0
	global_atomic_cmpswap_b64 v[14:15], v13, v[0:3], s[2:3] offset:24 glc
	s_waitcnt vmcnt(0)
	v_cmp_eq_u64_e32 vcc_lo, v[14:15], v[2:3]
	v_dual_mov_b32 v2, v14 :: v_dual_mov_b32 v3, v15
	s_or_b32 s0, vcc_lo, s0
	s_delay_alu instid0(SALU_CYCLE_1)
	s_and_not1_b32 exec_lo, exec_lo, s0
	s_cbranch_execnz .LBB1_256
.LBB1_257:
	s_or_b32 exec_lo, exec_lo, s6
.LBB1_258:
	s_delay_alu instid0(SALU_CYCLE_1) | instskip(SKIP_3) | instid1(VALU_DEP_3)
	s_or_b32 exec_lo, exec_lo, s1
	v_readfirstlane_b32 s0, v49
	v_mov_b32_e32 v13, 0
	v_mov_b32_e32 v14, 0
	v_cmp_eq_u32_e64 s0, s0, v49
	s_delay_alu instid0(VALU_DEP_1)
	s_and_saveexec_b32 s1, s0
	s_cbranch_execz .LBB1_264
; %bb.259:
	v_mov_b32_e32 v0, 0
	s_mov_b32 s4, exec_lo
	global_load_b64 v[15:16], v0, s[2:3] offset:24 glc
	s_waitcnt vmcnt(0)
	buffer_gl1_inv
	buffer_gl0_inv
	s_clause 0x1
	global_load_b64 v[1:2], v0, s[2:3] offset:40
	global_load_b64 v[11:12], v0, s[2:3]
	s_waitcnt vmcnt(1)
	v_and_b32_e32 v1, v1, v15
	v_and_b32_e32 v2, v2, v16
	s_delay_alu instid0(VALU_DEP_2) | instskip(NEXT) | instid1(VALU_DEP_2)
	v_mul_hi_u32 v3, v1, 24
	v_mul_lo_u32 v2, v2, 24
	v_mul_lo_u32 v1, v1, 24
	s_delay_alu instid0(VALU_DEP_2) | instskip(SKIP_1) | instid1(VALU_DEP_2)
	v_add_nc_u32_e32 v2, v3, v2
	s_waitcnt vmcnt(0)
	v_add_co_u32 v1, vcc_lo, v11, v1
	s_delay_alu instid0(VALU_DEP_2)
	v_add_co_ci_u32_e32 v2, vcc_lo, v12, v2, vcc_lo
	global_load_b64 v[13:14], v[1:2], off glc
	s_waitcnt vmcnt(0)
	global_atomic_cmpswap_b64 v[13:14], v0, v[13:16], s[2:3] offset:24 glc
	s_waitcnt vmcnt(0)
	buffer_gl1_inv
	buffer_gl0_inv
	v_cmpx_ne_u64_e64 v[13:14], v[15:16]
	s_cbranch_execz .LBB1_263
; %bb.260:
	s_mov_b32 s5, 0
	.p2align	6
.LBB1_261:                              ; =>This Inner Loop Header: Depth=1
	s_sleep 1
	s_clause 0x1
	global_load_b64 v[1:2], v0, s[2:3] offset:40
	global_load_b64 v[11:12], v0, s[2:3]
	v_dual_mov_b32 v16, v14 :: v_dual_mov_b32 v15, v13
	s_waitcnt vmcnt(1)
	s_delay_alu instid0(VALU_DEP_1) | instskip(SKIP_1) | instid1(VALU_DEP_1)
	v_and_b32_e32 v1, v1, v15
	s_waitcnt vmcnt(0)
	v_mad_u64_u32 v[13:14], null, v1, 24, v[11:12]
	v_and_b32_e32 v11, v2, v16
	s_delay_alu instid0(VALU_DEP_2) | instskip(NEXT) | instid1(VALU_DEP_1)
	v_mov_b32_e32 v1, v14
	v_mad_u64_u32 v[2:3], null, v11, 24, v[1:2]
	s_delay_alu instid0(VALU_DEP_1)
	v_mov_b32_e32 v14, v2
	global_load_b64 v[13:14], v[13:14], off glc
	s_waitcnt vmcnt(0)
	global_atomic_cmpswap_b64 v[13:14], v0, v[13:16], s[2:3] offset:24 glc
	s_waitcnt vmcnt(0)
	buffer_gl1_inv
	buffer_gl0_inv
	v_cmp_eq_u64_e32 vcc_lo, v[13:14], v[15:16]
	s_or_b32 s5, vcc_lo, s5
	s_delay_alu instid0(SALU_CYCLE_1)
	s_and_not1_b32 exec_lo, exec_lo, s5
	s_cbranch_execnz .LBB1_261
; %bb.262:
	s_or_b32 exec_lo, exec_lo, s5
.LBB1_263:
	s_delay_alu instid0(SALU_CYCLE_1)
	s_or_b32 exec_lo, exec_lo, s4
.LBB1_264:
	s_delay_alu instid0(SALU_CYCLE_1)
	s_or_b32 exec_lo, exec_lo, s1
	s_waitcnt vmcnt(0)
	v_mov_b32_e32 v12, 0
	v_readfirstlane_b32 s4, v13
	v_readfirstlane_b32 s5, v14
	s_mov_b32 s1, exec_lo
	s_clause 0x1
	global_load_b64 v[15:16], v12, s[2:3] offset:40
	global_load_b128 v[0:3], v12, s[2:3]
	s_waitcnt vmcnt(1)
	v_readfirstlane_b32 s6, v15
	v_readfirstlane_b32 s7, v16
	s_delay_alu instid0(VALU_DEP_1) | instskip(NEXT) | instid1(SALU_CYCLE_1)
	s_and_b64 s[6:7], s[4:5], s[6:7]
	s_mul_i32 s10, s7, 24
	s_mul_hi_u32 s11, s6, 24
	s_mul_i32 s12, s6, 24
	s_add_i32 s11, s11, s10
	s_waitcnt vmcnt(0)
	v_add_co_u32 v13, vcc_lo, v0, s12
	v_add_co_ci_u32_e32 v14, vcc_lo, s11, v1, vcc_lo
	s_and_saveexec_b32 s10, s0
	s_cbranch_execz .LBB1_266
; %bb.265:
	v_dual_mov_b32 v11, s1 :: v_dual_mov_b32 v18, 1
	v_dual_mov_b32 v17, 2 :: v_dual_mov_b32 v16, v12
	s_delay_alu instid0(VALU_DEP_2)
	v_mov_b32_e32 v15, v11
	global_store_b128 v[13:14], v[15:18], off offset:8
.LBB1_266:
	s_or_b32 exec_lo, exec_lo, s10
	s_lshl_b64 s[6:7], s[6:7], 12
	s_mov_b32 s12, 0
	v_add_co_u32 v2, vcc_lo, v2, s6
	v_add_co_ci_u32_e32 v3, vcc_lo, s7, v3, vcc_lo
	s_mov_b32 s15, s12
	s_delay_alu instid0(VALU_DEP_2)
	v_add_co_u32 v15, vcc_lo, v2, v48
	s_mov_b32 s13, s12
	s_mov_b32 s14, s12
	v_and_or_b32 v9, 0xffffff1f, v9, 32
	v_dual_mov_b32 v11, v4 :: v_dual_mov_b32 v20, s15
	v_readfirstlane_b32 s6, v2
	v_readfirstlane_b32 s7, v3
	v_add_co_ci_u32_e32 v16, vcc_lo, 0, v3, vcc_lo
	v_dual_mov_b32 v19, s14 :: v_dual_mov_b32 v18, s13
	v_mov_b32_e32 v17, s12
	s_clause 0x3
	global_store_b128 v48, v[9:12], s[6:7]
	global_store_b128 v48, v[17:20], s[6:7] offset:16
	global_store_b128 v48, v[17:20], s[6:7] offset:32
	;; [unrolled: 1-line block ×3, first 2 shown]
	s_and_saveexec_b32 s1, s0
	s_cbranch_execz .LBB1_274
; %bb.267:
	v_dual_mov_b32 v4, 0 :: v_dual_mov_b32 v17, s4
	v_mov_b32_e32 v18, s5
	s_clause 0x1
	global_load_b64 v[19:20], v4, s[2:3] offset:32 glc
	global_load_b64 v[2:3], v4, s[2:3] offset:40
	s_waitcnt vmcnt(0)
	v_readfirstlane_b32 s6, v2
	v_readfirstlane_b32 s7, v3
	s_delay_alu instid0(VALU_DEP_1) | instskip(NEXT) | instid1(SALU_CYCLE_1)
	s_and_b64 s[6:7], s[6:7], s[4:5]
	s_mul_i32 s7, s7, 24
	s_mul_hi_u32 s10, s6, 24
	s_mul_i32 s6, s6, 24
	s_add_i32 s10, s10, s7
	v_add_co_u32 v9, vcc_lo, v0, s6
	v_add_co_ci_u32_e32 v10, vcc_lo, s10, v1, vcc_lo
	s_mov_b32 s6, exec_lo
	global_store_b64 v[9:10], v[19:20], off
	s_waitcnt_vscnt null, 0x0
	global_atomic_cmpswap_b64 v[2:3], v4, v[17:20], s[2:3] offset:32 glc
	s_waitcnt vmcnt(0)
	v_cmpx_ne_u64_e64 v[2:3], v[19:20]
	s_cbranch_execz .LBB1_270
; %bb.268:
	s_mov_b32 s7, 0
.LBB1_269:                              ; =>This Inner Loop Header: Depth=1
	v_dual_mov_b32 v0, s4 :: v_dual_mov_b32 v1, s5
	s_sleep 1
	global_store_b64 v[9:10], v[2:3], off
	s_waitcnt_vscnt null, 0x0
	global_atomic_cmpswap_b64 v[0:1], v4, v[0:3], s[2:3] offset:32 glc
	s_waitcnt vmcnt(0)
	v_cmp_eq_u64_e32 vcc_lo, v[0:1], v[2:3]
	v_dual_mov_b32 v3, v1 :: v_dual_mov_b32 v2, v0
	s_or_b32 s7, vcc_lo, s7
	s_delay_alu instid0(SALU_CYCLE_1)
	s_and_not1_b32 exec_lo, exec_lo, s7
	s_cbranch_execnz .LBB1_269
.LBB1_270:
	s_or_b32 exec_lo, exec_lo, s6
	v_mov_b32_e32 v3, 0
	s_mov_b32 s7, exec_lo
	s_mov_b32 s6, exec_lo
	v_mbcnt_lo_u32_b32 v2, s7, 0
	global_load_b64 v[0:1], v3, s[2:3] offset:16
	v_cmpx_eq_u32_e32 0, v2
	s_cbranch_execz .LBB1_272
; %bb.271:
	s_bcnt1_i32_b32 s7, s7
	s_delay_alu instid0(SALU_CYCLE_1)
	v_mov_b32_e32 v2, s7
	s_waitcnt vmcnt(0)
	global_atomic_add_u64 v[0:1], v[2:3], off offset:8
.LBB1_272:
	s_or_b32 exec_lo, exec_lo, s6
	s_waitcnt vmcnt(0)
	global_load_b64 v[2:3], v[0:1], off offset:16
	s_waitcnt vmcnt(0)
	v_cmp_eq_u64_e32 vcc_lo, 0, v[2:3]
	s_cbranch_vccnz .LBB1_274
; %bb.273:
	global_load_b32 v0, v[0:1], off offset:24
	s_waitcnt vmcnt(0)
	v_dual_mov_b32 v1, 0 :: v_dual_and_b32 v4, 0xffffff, v0
	s_waitcnt_vscnt null, 0x0
	global_store_b64 v[2:3], v[0:1], off
	v_readfirstlane_b32 m0, v4
	s_sendmsg sendmsg(MSG_INTERRUPT)
.LBB1_274:
	s_or_b32 exec_lo, exec_lo, s1
	s_branch .LBB1_278
	.p2align	6
.LBB1_275:                              ;   in Loop: Header=BB1_278 Depth=1
	s_or_b32 exec_lo, exec_lo, s1
	s_delay_alu instid0(VALU_DEP_1) | instskip(NEXT) | instid1(VALU_DEP_1)
	v_readfirstlane_b32 s1, v0
	s_cmp_eq_u32 s1, 0
	s_cbranch_scc1 .LBB1_277
; %bb.276:                              ;   in Loop: Header=BB1_278 Depth=1
	s_sleep 1
	s_cbranch_execnz .LBB1_278
	s_branch .LBB1_280
	.p2align	6
.LBB1_277:
	s_branch .LBB1_280
.LBB1_278:                              ; =>This Inner Loop Header: Depth=1
	v_mov_b32_e32 v0, 1
	s_and_saveexec_b32 s1, s0
	s_cbranch_execz .LBB1_275
; %bb.279:                              ;   in Loop: Header=BB1_278 Depth=1
	global_load_b32 v0, v[13:14], off offset:20 glc
	s_waitcnt vmcnt(0)
	buffer_gl1_inv
	buffer_gl0_inv
	v_and_b32_e32 v0, 1, v0
	s_branch .LBB1_275
.LBB1_280:
	global_load_b64 v[0:1], v[15:16], off
	s_and_saveexec_b32 s1, s0
	s_cbranch_execz .LBB1_284
; %bb.281:
	v_mov_b32_e32 v4, 0
	s_clause 0x2
	global_load_b64 v[2:3], v4, s[2:3] offset:40
	global_load_b64 v[13:14], v4, s[2:3] offset:24 glc
	global_load_b64 v[11:12], v4, s[2:3]
	s_waitcnt vmcnt(2)
	v_add_co_u32 v15, vcc_lo, v2, 1
	v_add_co_ci_u32_e32 v16, vcc_lo, 0, v3, vcc_lo
	s_delay_alu instid0(VALU_DEP_2) | instskip(NEXT) | instid1(VALU_DEP_2)
	v_add_co_u32 v9, vcc_lo, v15, s4
	v_add_co_ci_u32_e32 v10, vcc_lo, s5, v16, vcc_lo
	s_delay_alu instid0(VALU_DEP_1) | instskip(SKIP_1) | instid1(VALU_DEP_1)
	v_cmp_eq_u64_e32 vcc_lo, 0, v[9:10]
	v_cndmask_b32_e32 v9, v9, v15, vcc_lo
	v_and_b32_e32 v2, v9, v2
	s_delay_alu instid0(VALU_DEP_1) | instskip(SKIP_2) | instid1(VALU_DEP_2)
	v_mul_hi_u32 v15, v2, 24
	v_cndmask_b32_e32 v10, v10, v16, vcc_lo
	v_mul_lo_u32 v2, v2, 24
	v_and_b32_e32 v3, v10, v3
	s_waitcnt vmcnt(0)
	s_delay_alu instid0(VALU_DEP_2) | instskip(NEXT) | instid1(VALU_DEP_2)
	v_add_co_u32 v2, vcc_lo, v11, v2
	v_mul_lo_u32 v3, v3, 24
	v_mov_b32_e32 v11, v13
	s_delay_alu instid0(VALU_DEP_2) | instskip(NEXT) | instid1(VALU_DEP_1)
	v_add_nc_u32_e32 v3, v15, v3
	v_add_co_ci_u32_e32 v3, vcc_lo, v12, v3, vcc_lo
	v_mov_b32_e32 v12, v14
	global_store_b64 v[2:3], v[13:14], off
	s_waitcnt_vscnt null, 0x0
	global_atomic_cmpswap_b64 v[11:12], v4, v[9:12], s[2:3] offset:24 glc
	s_waitcnt vmcnt(0)
	v_cmp_ne_u64_e32 vcc_lo, v[11:12], v[13:14]
	s_and_b32 exec_lo, exec_lo, vcc_lo
	s_cbranch_execz .LBB1_284
; %bb.282:
	s_mov_b32 s0, 0
.LBB1_283:                              ; =>This Inner Loop Header: Depth=1
	s_sleep 1
	global_store_b64 v[2:3], v[11:12], off
	s_waitcnt_vscnt null, 0x0
	global_atomic_cmpswap_b64 v[13:14], v4, v[9:12], s[2:3] offset:24 glc
	s_waitcnt vmcnt(0)
	v_cmp_eq_u64_e32 vcc_lo, v[13:14], v[11:12]
	v_dual_mov_b32 v11, v13 :: v_dual_mov_b32 v12, v14
	s_or_b32 s0, vcc_lo, s0
	s_delay_alu instid0(SALU_CYCLE_1)
	s_and_not1_b32 exec_lo, exec_lo, s0
	s_cbranch_execnz .LBB1_283
.LBB1_284:
	s_or_b32 exec_lo, exec_lo, s1
	v_dual_mov_b32 v3, v5 :: v_dual_mov_b32 v4, v6
	s_mov_b32 s0, 0
.LBB1_285:                              ; =>This Inner Loop Header: Depth=1
	flat_load_u8 v9, v[3:4]
	v_add_co_u32 v2, vcc_lo, v3, 1
	v_add_co_ci_u32_e32 v3, vcc_lo, 0, v4, vcc_lo
	s_delay_alu instid0(VALU_DEP_1) | instskip(NEXT) | instid1(VALU_DEP_3)
	v_mov_b32_e32 v4, v3
	v_mov_b32_e32 v3, v2
	s_waitcnt vmcnt(0) lgkmcnt(0)
	v_cmp_eq_u16_e32 vcc_lo, 0, v9
	s_or_b32 s0, vcc_lo, s0
	s_delay_alu instid0(SALU_CYCLE_1)
	s_and_not1_b32 exec_lo, exec_lo, s0
	s_cbranch_execnz .LBB1_285
; %bb.286:
	s_or_b32 exec_lo, exec_lo, s0
	s_delay_alu instid0(SALU_CYCLE_1)
	s_mov_b32 s0, exec_lo
	v_cmpx_ne_u64_e32 0, v[5:6]
	s_xor_b32 s10, exec_lo, s0
	s_cbranch_execz .LBB1_372
; %bb.287:
	v_sub_nc_u32_e32 v29, v2, v5
	v_dual_mov_b32 v11, 2 :: v_dual_and_b32 v4, 2, v0
	v_mov_b32_e32 v10, 0
	v_and_b32_e32 v0, -3, v0
	s_delay_alu instid0(VALU_DEP_4)
	v_ashrrev_i32_e32 v30, 31, v29
	v_mov_b32_e32 v12, 1
	s_mov_b32 s12, 0
	s_mov_b32 s11, 0
	s_branch .LBB1_289
.LBB1_288:                              ;   in Loop: Header=BB1_289 Depth=1
	s_or_b32 exec_lo, exec_lo, s1
	v_sub_co_u32 v29, vcc_lo, v29, v31
	v_sub_co_ci_u32_e32 v30, vcc_lo, v30, v32, vcc_lo
	v_add_co_u32 v5, s0, v5, v31
	s_delay_alu instid0(VALU_DEP_1) | instskip(NEXT) | instid1(VALU_DEP_3)
	v_add_co_ci_u32_e64 v6, s0, v6, v32, s0
	v_cmp_eq_u64_e32 vcc_lo, 0, v[29:30]
	s_or_b32 s11, vcc_lo, s11
	s_delay_alu instid0(SALU_CYCLE_1)
	s_and_not1_b32 exec_lo, exec_lo, s11
	s_cbranch_execz .LBB1_371
.LBB1_289:                              ; =>This Loop Header: Depth=1
                                        ;     Child Loop BB1_292 Depth 2
                                        ;     Child Loop BB1_300 Depth 2
	;; [unrolled: 1-line block ×11, first 2 shown]
	v_cmp_gt_u64_e32 vcc_lo, 56, v[29:30]
	s_mov_b32 s1, exec_lo
                                        ; implicit-def: $vgpr2_vgpr3
                                        ; implicit-def: $sgpr4
	v_dual_cndmask_b32 v32, 0, v30 :: v_dual_cndmask_b32 v31, 56, v29
	v_cmpx_gt_u64_e32 8, v[29:30]
	s_xor_b32 s1, exec_lo, s1
	s_cbranch_execz .LBB1_295
; %bb.290:                              ;   in Loop: Header=BB1_289 Depth=1
	s_waitcnt vmcnt(0)
	v_mov_b32_e32 v2, 0
	v_mov_b32_e32 v3, 0
	s_mov_b64 s[4:5], 0
	s_mov_b32 s6, exec_lo
	v_cmpx_ne_u64_e32 0, v[29:30]
	s_cbranch_execz .LBB1_294
; %bb.291:                              ;   in Loop: Header=BB1_289 Depth=1
	v_lshlrev_b64 v[13:14], 3, v[31:32]
	v_dual_mov_b32 v2, 0 :: v_dual_mov_b32 v15, v6
	v_dual_mov_b32 v3, 0 :: v_dual_mov_b32 v14, v5
	s_mov_b32 s7, 0
	.p2align	6
.LBB1_292:                              ;   Parent Loop BB1_289 Depth=1
                                        ; =>  This Inner Loop Header: Depth=2
	flat_load_u8 v9, v[14:15]
	v_mov_b32_e32 v17, s12
	v_add_co_u32 v14, vcc_lo, v14, 1
	v_add_co_ci_u32_e32 v15, vcc_lo, 0, v15, vcc_lo
	s_waitcnt vmcnt(0) lgkmcnt(0)
	v_and_b32_e32 v16, 0xffff, v9
	s_delay_alu instid0(VALU_DEP_1) | instskip(SKIP_3) | instid1(VALU_DEP_2)
	v_lshlrev_b64 v[16:17], s4, v[16:17]
	s_add_u32 s4, s4, 8
	s_addc_u32 s5, s5, 0
	v_cmp_eq_u32_e64 s0, s4, v13
	v_or_b32_e32 v3, v17, v3
	s_delay_alu instid0(VALU_DEP_3) | instskip(NEXT) | instid1(VALU_DEP_3)
	v_or_b32_e32 v2, v16, v2
	s_or_b32 s7, s0, s7
	s_delay_alu instid0(SALU_CYCLE_1)
	s_and_not1_b32 exec_lo, exec_lo, s7
	s_cbranch_execnz .LBB1_292
; %bb.293:                              ;   in Loop: Header=BB1_289 Depth=1
	s_or_b32 exec_lo, exec_lo, s7
.LBB1_294:                              ;   in Loop: Header=BB1_289 Depth=1
	s_delay_alu instid0(SALU_CYCLE_1)
	s_or_b32 exec_lo, exec_lo, s6
	s_mov_b32 s4, 0
.LBB1_295:                              ;   in Loop: Header=BB1_289 Depth=1
	s_or_saveexec_b32 s0, s1
	v_dual_mov_b32 v9, s4 :: v_dual_mov_b32 v26, v6
	v_mov_b32_e32 v25, v5
	s_xor_b32 exec_lo, exec_lo, s0
	s_cbranch_execz .LBB1_297
; %bb.296:                              ;   in Loop: Header=BB1_289 Depth=1
	s_waitcnt vmcnt(0)
	flat_load_b64 v[2:3], v[5:6]
	v_add_co_u32 v25, vcc_lo, v5, 8
	v_add_co_ci_u32_e32 v26, vcc_lo, 0, v6, vcc_lo
	s_waitcnt vmcnt(0) lgkmcnt(0)
	v_and_b32_e32 v9, 0xff, v3
	v_and_b32_e32 v13, 0xff00, v3
	;; [unrolled: 1-line block ×4, first 2 shown]
	v_or3_b32 v2, v2, 0, 0
	s_delay_alu instid0(VALU_DEP_4) | instskip(SKIP_1) | instid1(VALU_DEP_2)
	v_or_b32_e32 v13, v9, v13
	v_add_nc_u32_e32 v9, -8, v31
	v_or3_b32 v3, v13, v14, v3
.LBB1_297:                              ;   in Loop: Header=BB1_289 Depth=1
	s_or_b32 exec_lo, exec_lo, s0
                                        ; implicit-def: $vgpr13_vgpr14
                                        ; implicit-def: $sgpr1
	s_delay_alu instid0(SALU_CYCLE_1) | instskip(NEXT) | instid1(VALU_DEP_2)
	s_mov_b32 s0, exec_lo
	v_cmpx_gt_u32_e32 8, v9
	s_xor_b32 s6, exec_lo, s0
	s_cbranch_execz .LBB1_303
; %bb.298:                              ;   in Loop: Header=BB1_289 Depth=1
	v_mov_b32_e32 v13, 0
	v_mov_b32_e32 v14, 0
	s_mov_b32 s7, exec_lo
	v_cmpx_ne_u32_e32 0, v9
	s_cbranch_execz .LBB1_302
; %bb.299:                              ;   in Loop: Header=BB1_289 Depth=1
	v_mov_b32_e32 v13, 0
	v_mov_b32_e32 v14, 0
	s_mov_b64 s[0:1], 0
	s_mov_b32 s13, 0
	s_mov_b64 s[4:5], 0
	.p2align	6
.LBB1_300:                              ;   Parent Loop BB1_289 Depth=1
                                        ; =>  This Inner Loop Header: Depth=2
	s_delay_alu instid0(SALU_CYCLE_1)
	v_add_co_u32 v15, vcc_lo, v25, s4
	v_add_co_ci_u32_e32 v16, vcc_lo, s5, v26, vcc_lo
	s_add_u32 s4, s4, 1
	s_addc_u32 s5, s5, 0
	v_cmp_eq_u32_e32 vcc_lo, s4, v9
	flat_load_u8 v15, v[15:16]
	s_waitcnt vmcnt(0) lgkmcnt(0)
	v_dual_mov_b32 v16, s12 :: v_dual_and_b32 v15, 0xffff, v15
	s_delay_alu instid0(VALU_DEP_1) | instskip(SKIP_3) | instid1(VALU_DEP_1)
	v_lshlrev_b64 v[15:16], s0, v[15:16]
	s_add_u32 s0, s0, 8
	s_addc_u32 s1, s1, 0
	s_or_b32 s13, vcc_lo, s13
	v_or_b32_e32 v14, v16, v14
	s_delay_alu instid0(VALU_DEP_2)
	v_or_b32_e32 v13, v15, v13
	s_and_not1_b32 exec_lo, exec_lo, s13
	s_cbranch_execnz .LBB1_300
; %bb.301:                              ;   in Loop: Header=BB1_289 Depth=1
	s_or_b32 exec_lo, exec_lo, s13
.LBB1_302:                              ;   in Loop: Header=BB1_289 Depth=1
	s_delay_alu instid0(SALU_CYCLE_1)
	s_or_b32 exec_lo, exec_lo, s7
	s_mov_b32 s1, 0
                                        ; implicit-def: $vgpr9
.LBB1_303:                              ;   in Loop: Header=BB1_289 Depth=1
	s_or_saveexec_b32 s0, s6
	v_mov_b32_e32 v17, s1
	s_xor_b32 exec_lo, exec_lo, s0
	s_cbranch_execz .LBB1_305
; %bb.304:                              ;   in Loop: Header=BB1_289 Depth=1
	flat_load_b64 v[13:14], v[25:26]
	v_add_co_u32 v25, vcc_lo, v25, 8
	v_add_nc_u32_e32 v17, -8, v9
	v_add_co_ci_u32_e32 v26, vcc_lo, 0, v26, vcc_lo
	s_waitcnt vmcnt(0) lgkmcnt(0)
	v_and_b32_e32 v15, 0xff, v14
	v_and_b32_e32 v16, 0xff00, v14
	;; [unrolled: 1-line block ×4, first 2 shown]
	v_or3_b32 v13, v13, 0, 0
	s_delay_alu instid0(VALU_DEP_4) | instskip(NEXT) | instid1(VALU_DEP_1)
	v_or_b32_e32 v15, v15, v16
	v_or3_b32 v14, v15, v18, v14
.LBB1_305:                              ;   in Loop: Header=BB1_289 Depth=1
	s_or_b32 exec_lo, exec_lo, s0
                                        ; implicit-def: $sgpr1
	s_delay_alu instid0(SALU_CYCLE_1)
	s_mov_b32 s0, exec_lo
	v_cmpx_gt_u32_e32 8, v17
	s_xor_b32 s6, exec_lo, s0
	s_cbranch_execz .LBB1_311
; %bb.306:                              ;   in Loop: Header=BB1_289 Depth=1
	v_mov_b32_e32 v15, 0
	v_mov_b32_e32 v16, 0
	s_mov_b32 s7, exec_lo
	v_cmpx_ne_u32_e32 0, v17
	s_cbranch_execz .LBB1_310
; %bb.307:                              ;   in Loop: Header=BB1_289 Depth=1
	v_mov_b32_e32 v15, 0
	v_mov_b32_e32 v16, 0
	s_mov_b64 s[0:1], 0
	s_mov_b32 s13, 0
	s_mov_b64 s[4:5], 0
	.p2align	6
.LBB1_308:                              ;   Parent Loop BB1_289 Depth=1
                                        ; =>  This Inner Loop Header: Depth=2
	s_delay_alu instid0(SALU_CYCLE_1)
	v_add_co_u32 v18, vcc_lo, v25, s4
	v_add_co_ci_u32_e32 v19, vcc_lo, s5, v26, vcc_lo
	s_add_u32 s4, s4, 1
	s_addc_u32 s5, s5, 0
	v_cmp_eq_u32_e32 vcc_lo, s4, v17
	flat_load_u8 v9, v[18:19]
	s_waitcnt vmcnt(0) lgkmcnt(0)
	v_dual_mov_b32 v19, s12 :: v_dual_and_b32 v18, 0xffff, v9
	s_delay_alu instid0(VALU_DEP_1) | instskip(SKIP_3) | instid1(VALU_DEP_1)
	v_lshlrev_b64 v[18:19], s0, v[18:19]
	s_add_u32 s0, s0, 8
	s_addc_u32 s1, s1, 0
	s_or_b32 s13, vcc_lo, s13
	v_or_b32_e32 v16, v19, v16
	s_delay_alu instid0(VALU_DEP_2)
	v_or_b32_e32 v15, v18, v15
	s_and_not1_b32 exec_lo, exec_lo, s13
	s_cbranch_execnz .LBB1_308
; %bb.309:                              ;   in Loop: Header=BB1_289 Depth=1
	s_or_b32 exec_lo, exec_lo, s13
.LBB1_310:                              ;   in Loop: Header=BB1_289 Depth=1
	s_delay_alu instid0(SALU_CYCLE_1)
	s_or_b32 exec_lo, exec_lo, s7
	s_mov_b32 s1, 0
                                        ; implicit-def: $vgpr17
.LBB1_311:                              ;   in Loop: Header=BB1_289 Depth=1
	s_or_saveexec_b32 s0, s6
	v_mov_b32_e32 v9, s1
	s_xor_b32 exec_lo, exec_lo, s0
	s_cbranch_execz .LBB1_313
; %bb.312:                              ;   in Loop: Header=BB1_289 Depth=1
	flat_load_b64 v[15:16], v[25:26]
	v_add_co_u32 v25, vcc_lo, v25, 8
	v_add_co_ci_u32_e32 v26, vcc_lo, 0, v26, vcc_lo
	s_waitcnt vmcnt(0) lgkmcnt(0)
	v_and_b32_e32 v9, 0xff, v16
	v_and_b32_e32 v18, 0xff00, v16
	;; [unrolled: 1-line block ×4, first 2 shown]
	v_or3_b32 v15, v15, 0, 0
	s_delay_alu instid0(VALU_DEP_4) | instskip(SKIP_1) | instid1(VALU_DEP_2)
	v_or_b32_e32 v18, v9, v18
	v_add_nc_u32_e32 v9, -8, v17
	v_or3_b32 v16, v18, v19, v16
.LBB1_313:                              ;   in Loop: Header=BB1_289 Depth=1
	s_or_b32 exec_lo, exec_lo, s0
                                        ; implicit-def: $vgpr17_vgpr18
                                        ; implicit-def: $sgpr1
	s_delay_alu instid0(SALU_CYCLE_1) | instskip(NEXT) | instid1(VALU_DEP_1)
	s_mov_b32 s0, exec_lo
	v_cmpx_gt_u32_e32 8, v9
	s_xor_b32 s6, exec_lo, s0
	s_cbranch_execz .LBB1_319
; %bb.314:                              ;   in Loop: Header=BB1_289 Depth=1
	v_mov_b32_e32 v17, 0
	v_mov_b32_e32 v18, 0
	s_mov_b32 s7, exec_lo
	v_cmpx_ne_u32_e32 0, v9
	s_cbranch_execz .LBB1_318
; %bb.315:                              ;   in Loop: Header=BB1_289 Depth=1
	v_mov_b32_e32 v17, 0
	v_mov_b32_e32 v18, 0
	s_mov_b64 s[0:1], 0
	s_mov_b32 s13, 0
	s_mov_b64 s[4:5], 0
	.p2align	6
.LBB1_316:                              ;   Parent Loop BB1_289 Depth=1
                                        ; =>  This Inner Loop Header: Depth=2
	s_delay_alu instid0(SALU_CYCLE_1)
	v_add_co_u32 v19, vcc_lo, v25, s4
	v_add_co_ci_u32_e32 v20, vcc_lo, s5, v26, vcc_lo
	s_add_u32 s4, s4, 1
	s_addc_u32 s5, s5, 0
	v_cmp_eq_u32_e32 vcc_lo, s4, v9
	flat_load_u8 v19, v[19:20]
	s_waitcnt vmcnt(0) lgkmcnt(0)
	v_dual_mov_b32 v20, s12 :: v_dual_and_b32 v19, 0xffff, v19
	s_delay_alu instid0(VALU_DEP_1) | instskip(SKIP_3) | instid1(VALU_DEP_1)
	v_lshlrev_b64 v[19:20], s0, v[19:20]
	s_add_u32 s0, s0, 8
	s_addc_u32 s1, s1, 0
	s_or_b32 s13, vcc_lo, s13
	v_or_b32_e32 v18, v20, v18
	s_delay_alu instid0(VALU_DEP_2)
	v_or_b32_e32 v17, v19, v17
	s_and_not1_b32 exec_lo, exec_lo, s13
	s_cbranch_execnz .LBB1_316
; %bb.317:                              ;   in Loop: Header=BB1_289 Depth=1
	s_or_b32 exec_lo, exec_lo, s13
.LBB1_318:                              ;   in Loop: Header=BB1_289 Depth=1
	s_delay_alu instid0(SALU_CYCLE_1)
	s_or_b32 exec_lo, exec_lo, s7
	s_mov_b32 s1, 0
                                        ; implicit-def: $vgpr9
.LBB1_319:                              ;   in Loop: Header=BB1_289 Depth=1
	s_or_saveexec_b32 s0, s6
	v_mov_b32_e32 v21, s1
	s_xor_b32 exec_lo, exec_lo, s0
	s_cbranch_execz .LBB1_321
; %bb.320:                              ;   in Loop: Header=BB1_289 Depth=1
	flat_load_b64 v[17:18], v[25:26]
	v_add_co_u32 v25, vcc_lo, v25, 8
	v_add_nc_u32_e32 v21, -8, v9
	v_add_co_ci_u32_e32 v26, vcc_lo, 0, v26, vcc_lo
	s_waitcnt vmcnt(0) lgkmcnt(0)
	v_and_b32_e32 v19, 0xff, v18
	v_and_b32_e32 v20, 0xff00, v18
	;; [unrolled: 1-line block ×4, first 2 shown]
	v_or3_b32 v17, v17, 0, 0
	s_delay_alu instid0(VALU_DEP_4) | instskip(NEXT) | instid1(VALU_DEP_1)
	v_or_b32_e32 v19, v19, v20
	v_or3_b32 v18, v19, v22, v18
.LBB1_321:                              ;   in Loop: Header=BB1_289 Depth=1
	s_or_b32 exec_lo, exec_lo, s0
                                        ; implicit-def: $sgpr1
	s_delay_alu instid0(SALU_CYCLE_1)
	s_mov_b32 s0, exec_lo
	v_cmpx_gt_u32_e32 8, v21
	s_xor_b32 s6, exec_lo, s0
	s_cbranch_execz .LBB1_327
; %bb.322:                              ;   in Loop: Header=BB1_289 Depth=1
	v_mov_b32_e32 v19, 0
	v_mov_b32_e32 v20, 0
	s_mov_b32 s7, exec_lo
	v_cmpx_ne_u32_e32 0, v21
	s_cbranch_execz .LBB1_326
; %bb.323:                              ;   in Loop: Header=BB1_289 Depth=1
	v_mov_b32_e32 v19, 0
	v_mov_b32_e32 v20, 0
	s_mov_b64 s[0:1], 0
	s_mov_b32 s13, 0
	s_mov_b64 s[4:5], 0
	.p2align	6
.LBB1_324:                              ;   Parent Loop BB1_289 Depth=1
                                        ; =>  This Inner Loop Header: Depth=2
	s_delay_alu instid0(SALU_CYCLE_1)
	v_add_co_u32 v22, vcc_lo, v25, s4
	v_add_co_ci_u32_e32 v23, vcc_lo, s5, v26, vcc_lo
	s_add_u32 s4, s4, 1
	s_addc_u32 s5, s5, 0
	v_cmp_eq_u32_e32 vcc_lo, s4, v21
	flat_load_u8 v9, v[22:23]
	s_waitcnt vmcnt(0) lgkmcnt(0)
	v_dual_mov_b32 v23, s12 :: v_dual_and_b32 v22, 0xffff, v9
	s_delay_alu instid0(VALU_DEP_1) | instskip(SKIP_3) | instid1(VALU_DEP_1)
	v_lshlrev_b64 v[22:23], s0, v[22:23]
	s_add_u32 s0, s0, 8
	s_addc_u32 s1, s1, 0
	s_or_b32 s13, vcc_lo, s13
	v_or_b32_e32 v20, v23, v20
	s_delay_alu instid0(VALU_DEP_2)
	v_or_b32_e32 v19, v22, v19
	s_and_not1_b32 exec_lo, exec_lo, s13
	s_cbranch_execnz .LBB1_324
; %bb.325:                              ;   in Loop: Header=BB1_289 Depth=1
	s_or_b32 exec_lo, exec_lo, s13
.LBB1_326:                              ;   in Loop: Header=BB1_289 Depth=1
	s_delay_alu instid0(SALU_CYCLE_1)
	s_or_b32 exec_lo, exec_lo, s7
	s_mov_b32 s1, 0
                                        ; implicit-def: $vgpr21
.LBB1_327:                              ;   in Loop: Header=BB1_289 Depth=1
	s_or_saveexec_b32 s0, s6
	v_mov_b32_e32 v9, s1
	s_xor_b32 exec_lo, exec_lo, s0
	s_cbranch_execz .LBB1_329
; %bb.328:                              ;   in Loop: Header=BB1_289 Depth=1
	flat_load_b64 v[19:20], v[25:26]
	v_add_co_u32 v25, vcc_lo, v25, 8
	v_add_co_ci_u32_e32 v26, vcc_lo, 0, v26, vcc_lo
	s_waitcnt vmcnt(0) lgkmcnt(0)
	v_and_b32_e32 v9, 0xff, v20
	v_and_b32_e32 v22, 0xff00, v20
	;; [unrolled: 1-line block ×4, first 2 shown]
	v_or3_b32 v19, v19, 0, 0
	s_delay_alu instid0(VALU_DEP_4) | instskip(SKIP_1) | instid1(VALU_DEP_2)
	v_or_b32_e32 v22, v9, v22
	v_add_nc_u32_e32 v9, -8, v21
	v_or3_b32 v20, v22, v23, v20
.LBB1_329:                              ;   in Loop: Header=BB1_289 Depth=1
	s_or_b32 exec_lo, exec_lo, s0
                                        ; implicit-def: $vgpr21_vgpr22
                                        ; implicit-def: $sgpr1
	s_delay_alu instid0(SALU_CYCLE_1) | instskip(NEXT) | instid1(VALU_DEP_1)
	s_mov_b32 s0, exec_lo
	v_cmpx_gt_u32_e32 8, v9
	s_xor_b32 s6, exec_lo, s0
	s_cbranch_execz .LBB1_335
; %bb.330:                              ;   in Loop: Header=BB1_289 Depth=1
	v_mov_b32_e32 v21, 0
	v_mov_b32_e32 v22, 0
	s_mov_b32 s7, exec_lo
	v_cmpx_ne_u32_e32 0, v9
	s_cbranch_execz .LBB1_334
; %bb.331:                              ;   in Loop: Header=BB1_289 Depth=1
	v_mov_b32_e32 v21, 0
	v_mov_b32_e32 v22, 0
	s_mov_b64 s[0:1], 0
	s_mov_b32 s13, 0
	s_mov_b64 s[4:5], 0
	.p2align	6
.LBB1_332:                              ;   Parent Loop BB1_289 Depth=1
                                        ; =>  This Inner Loop Header: Depth=2
	s_delay_alu instid0(SALU_CYCLE_1)
	v_add_co_u32 v23, vcc_lo, v25, s4
	v_add_co_ci_u32_e32 v24, vcc_lo, s5, v26, vcc_lo
	s_add_u32 s4, s4, 1
	s_addc_u32 s5, s5, 0
	v_cmp_eq_u32_e32 vcc_lo, s4, v9
	flat_load_u8 v23, v[23:24]
	s_waitcnt vmcnt(0) lgkmcnt(0)
	v_dual_mov_b32 v24, s12 :: v_dual_and_b32 v23, 0xffff, v23
	s_delay_alu instid0(VALU_DEP_1) | instskip(SKIP_3) | instid1(VALU_DEP_1)
	v_lshlrev_b64 v[23:24], s0, v[23:24]
	s_add_u32 s0, s0, 8
	s_addc_u32 s1, s1, 0
	s_or_b32 s13, vcc_lo, s13
	v_or_b32_e32 v22, v24, v22
	s_delay_alu instid0(VALU_DEP_2)
	v_or_b32_e32 v21, v23, v21
	s_and_not1_b32 exec_lo, exec_lo, s13
	s_cbranch_execnz .LBB1_332
; %bb.333:                              ;   in Loop: Header=BB1_289 Depth=1
	s_or_b32 exec_lo, exec_lo, s13
.LBB1_334:                              ;   in Loop: Header=BB1_289 Depth=1
	s_delay_alu instid0(SALU_CYCLE_1)
	s_or_b32 exec_lo, exec_lo, s7
	s_mov_b32 s1, 0
                                        ; implicit-def: $vgpr9
.LBB1_335:                              ;   in Loop: Header=BB1_289 Depth=1
	s_or_saveexec_b32 s0, s6
	v_mov_b32_e32 v27, s1
	s_xor_b32 exec_lo, exec_lo, s0
	s_cbranch_execz .LBB1_337
; %bb.336:                              ;   in Loop: Header=BB1_289 Depth=1
	flat_load_b64 v[21:22], v[25:26]
	v_add_co_u32 v25, vcc_lo, v25, 8
	v_add_nc_u32_e32 v27, -8, v9
	v_add_co_ci_u32_e32 v26, vcc_lo, 0, v26, vcc_lo
	s_waitcnt vmcnt(0) lgkmcnt(0)
	v_and_b32_e32 v23, 0xff, v22
	v_and_b32_e32 v24, 0xff00, v22
	;; [unrolled: 1-line block ×4, first 2 shown]
	v_or3_b32 v21, v21, 0, 0
	s_delay_alu instid0(VALU_DEP_4) | instskip(NEXT) | instid1(VALU_DEP_1)
	v_or_b32_e32 v23, v23, v24
	v_or3_b32 v22, v23, v28, v22
.LBB1_337:                              ;   in Loop: Header=BB1_289 Depth=1
	s_or_b32 exec_lo, exec_lo, s0
	s_delay_alu instid0(SALU_CYCLE_1)
	s_mov_b32 s0, exec_lo
	v_cmpx_gt_u32_e32 8, v27
	s_xor_b32 s4, exec_lo, s0
	s_cbranch_execz .LBB1_343
; %bb.338:                              ;   in Loop: Header=BB1_289 Depth=1
	v_mov_b32_e32 v23, 0
	v_mov_b32_e32 v24, 0
	s_mov_b32 s5, exec_lo
	v_cmpx_ne_u32_e32 0, v27
	s_cbranch_execz .LBB1_342
; %bb.339:                              ;   in Loop: Header=BB1_289 Depth=1
	v_mov_b32_e32 v23, 0
	v_mov_b32_e32 v24, 0
	s_mov_b64 s[0:1], 0
	s_mov_b32 s6, 0
	.p2align	6
.LBB1_340:                              ;   Parent Loop BB1_289 Depth=1
                                        ; =>  This Inner Loop Header: Depth=2
	flat_load_u8 v9, v[25:26]
	v_dual_mov_b32 v34, s12 :: v_dual_add_nc_u32 v27, -1, v27
	v_add_co_u32 v25, vcc_lo, v25, 1
	v_add_co_ci_u32_e32 v26, vcc_lo, 0, v26, vcc_lo
	s_delay_alu instid0(VALU_DEP_3) | instskip(SKIP_2) | instid1(VALU_DEP_1)
	v_cmp_eq_u32_e32 vcc_lo, 0, v27
	s_waitcnt vmcnt(0) lgkmcnt(0)
	v_and_b32_e32 v33, 0xffff, v9
	v_lshlrev_b64 v[33:34], s0, v[33:34]
	s_add_u32 s0, s0, 8
	s_addc_u32 s1, s1, 0
	s_or_b32 s6, vcc_lo, s6
	s_delay_alu instid0(VALU_DEP_1) | instskip(NEXT) | instid1(VALU_DEP_2)
	v_or_b32_e32 v24, v34, v24
	v_or_b32_e32 v23, v33, v23
	s_and_not1_b32 exec_lo, exec_lo, s6
	s_cbranch_execnz .LBB1_340
; %bb.341:                              ;   in Loop: Header=BB1_289 Depth=1
	s_or_b32 exec_lo, exec_lo, s6
.LBB1_342:                              ;   in Loop: Header=BB1_289 Depth=1
	s_delay_alu instid0(SALU_CYCLE_1)
	s_or_b32 exec_lo, exec_lo, s5
                                        ; implicit-def: $vgpr25_vgpr26
.LBB1_343:                              ;   in Loop: Header=BB1_289 Depth=1
	s_and_not1_saveexec_b32 s0, s4
	s_cbranch_execz .LBB1_345
; %bb.344:                              ;   in Loop: Header=BB1_289 Depth=1
	flat_load_b64 v[23:24], v[25:26]
	s_waitcnt vmcnt(0) lgkmcnt(0)
	v_and_b32_e32 v9, 0xff, v24
	v_and_b32_e32 v25, 0xff00, v24
	;; [unrolled: 1-line block ×4, first 2 shown]
	v_or3_b32 v23, v23, 0, 0
	s_delay_alu instid0(VALU_DEP_4) | instskip(NEXT) | instid1(VALU_DEP_1)
	v_or_b32_e32 v9, v9, v25
	v_or3_b32 v24, v9, v26, v24
.LBB1_345:                              ;   in Loop: Header=BB1_289 Depth=1
	s_or_b32 exec_lo, exec_lo, s0
	v_readfirstlane_b32 s0, v49
	v_mov_b32_e32 v33, 0
	v_mov_b32_e32 v34, 0
	s_delay_alu instid0(VALU_DEP_3) | instskip(NEXT) | instid1(VALU_DEP_1)
	v_cmp_eq_u32_e64 s0, s0, v49
	s_and_saveexec_b32 s1, s0
	s_cbranch_execz .LBB1_351
; %bb.346:                              ;   in Loop: Header=BB1_289 Depth=1
	global_load_b64 v[27:28], v10, s[2:3] offset:24 glc
	s_waitcnt vmcnt(0)
	buffer_gl1_inv
	buffer_gl0_inv
	s_clause 0x1
	global_load_b64 v[25:26], v10, s[2:3] offset:40
	global_load_b64 v[33:34], v10, s[2:3]
	s_mov_b32 s4, exec_lo
	s_waitcnt vmcnt(1)
	v_and_b32_e32 v9, v26, v28
	v_and_b32_e32 v25, v25, v27
	s_delay_alu instid0(VALU_DEP_2) | instskip(NEXT) | instid1(VALU_DEP_2)
	v_mul_lo_u32 v9, v9, 24
	v_mul_hi_u32 v26, v25, 24
	v_mul_lo_u32 v25, v25, 24
	s_delay_alu instid0(VALU_DEP_2) | instskip(SKIP_1) | instid1(VALU_DEP_2)
	v_add_nc_u32_e32 v9, v26, v9
	s_waitcnt vmcnt(0)
	v_add_co_u32 v25, vcc_lo, v33, v25
	s_delay_alu instid0(VALU_DEP_2)
	v_add_co_ci_u32_e32 v26, vcc_lo, v34, v9, vcc_lo
	global_load_b64 v[25:26], v[25:26], off glc
	s_waitcnt vmcnt(0)
	global_atomic_cmpswap_b64 v[33:34], v10, v[25:28], s[2:3] offset:24 glc
	s_waitcnt vmcnt(0)
	buffer_gl1_inv
	buffer_gl0_inv
	v_cmpx_ne_u64_e64 v[33:34], v[27:28]
	s_cbranch_execz .LBB1_350
; %bb.347:                              ;   in Loop: Header=BB1_289 Depth=1
	s_mov_b32 s5, 0
	.p2align	6
.LBB1_348:                              ;   Parent Loop BB1_289 Depth=1
                                        ; =>  This Inner Loop Header: Depth=2
	s_sleep 1
	s_clause 0x1
	global_load_b64 v[25:26], v10, s[2:3] offset:40
	global_load_b64 v[35:36], v10, s[2:3]
	v_dual_mov_b32 v27, v33 :: v_dual_mov_b32 v28, v34
	s_waitcnt vmcnt(1)
	s_delay_alu instid0(VALU_DEP_1) | instskip(SKIP_1) | instid1(VALU_DEP_1)
	v_and_b32_e32 v9, v25, v27
	s_waitcnt vmcnt(0)
	v_mad_u64_u32 v[33:34], null, v9, 24, v[35:36]
	v_and_b32_e32 v35, v26, v28
	s_delay_alu instid0(VALU_DEP_2) | instskip(NEXT) | instid1(VALU_DEP_1)
	v_mov_b32_e32 v9, v34
	v_mad_u64_u32 v[25:26], null, v35, 24, v[9:10]
	s_delay_alu instid0(VALU_DEP_1)
	v_mov_b32_e32 v34, v25
	global_load_b64 v[25:26], v[33:34], off glc
	s_waitcnt vmcnt(0)
	global_atomic_cmpswap_b64 v[33:34], v10, v[25:28], s[2:3] offset:24 glc
	s_waitcnt vmcnt(0)
	buffer_gl1_inv
	buffer_gl0_inv
	v_cmp_eq_u64_e32 vcc_lo, v[33:34], v[27:28]
	s_or_b32 s5, vcc_lo, s5
	s_delay_alu instid0(SALU_CYCLE_1)
	s_and_not1_b32 exec_lo, exec_lo, s5
	s_cbranch_execnz .LBB1_348
; %bb.349:                              ;   in Loop: Header=BB1_289 Depth=1
	s_or_b32 exec_lo, exec_lo, s5
.LBB1_350:                              ;   in Loop: Header=BB1_289 Depth=1
	s_delay_alu instid0(SALU_CYCLE_1)
	s_or_b32 exec_lo, exec_lo, s4
.LBB1_351:                              ;   in Loop: Header=BB1_289 Depth=1
	s_delay_alu instid0(SALU_CYCLE_1)
	s_or_b32 exec_lo, exec_lo, s1
	s_clause 0x1
	global_load_b64 v[35:36], v10, s[2:3] offset:40
	global_load_b128 v[25:28], v10, s[2:3]
	v_readfirstlane_b32 s4, v33
	v_readfirstlane_b32 s5, v34
	s_mov_b32 s1, exec_lo
	s_waitcnt vmcnt(1)
	v_readfirstlane_b32 s6, v35
	v_readfirstlane_b32 s7, v36
	s_delay_alu instid0(VALU_DEP_1) | instskip(NEXT) | instid1(SALU_CYCLE_1)
	s_and_b64 s[6:7], s[4:5], s[6:7]
	s_mul_i32 s13, s7, 24
	s_mul_hi_u32 s14, s6, 24
	s_mul_i32 s15, s6, 24
	s_add_i32 s14, s14, s13
	s_waitcnt vmcnt(0)
	v_add_co_u32 v33, vcc_lo, v25, s15
	v_add_co_ci_u32_e32 v34, vcc_lo, s14, v26, vcc_lo
	s_and_saveexec_b32 s13, s0
	s_cbranch_execz .LBB1_353
; %bb.352:                              ;   in Loop: Header=BB1_289 Depth=1
	v_mov_b32_e32 v9, s1
	global_store_b128 v[33:34], v[9:12], off offset:8
.LBB1_353:                              ;   in Loop: Header=BB1_289 Depth=1
	s_or_b32 exec_lo, exec_lo, s13
	v_cmp_lt_u64_e32 vcc_lo, 56, v[29:30]
	v_or_b32_e32 v9, 0, v1
	v_or_b32_e32 v35, v0, v4
	v_lshl_add_u32 v36, v31, 2, 28
	s_lshl_b64 s[6:7], s[6:7], 12
	s_delay_alu instid0(SALU_CYCLE_1) | instskip(NEXT) | instid1(VALU_DEP_1)
	v_add_co_u32 v27, s1, v27, s6
	v_add_co_ci_u32_e64 v28, s1, s7, v28, s1
	v_dual_cndmask_b32 v1, v9, v1 :: v_dual_cndmask_b32 v0, v35, v0
	v_and_b32_e32 v9, 0x1e0, v36
	s_delay_alu instid0(VALU_DEP_4) | instskip(NEXT) | instid1(VALU_DEP_4)
	v_readfirstlane_b32 s6, v27
	v_readfirstlane_b32 s7, v28
	s_delay_alu instid0(VALU_DEP_3)
	v_and_or_b32 v0, 0xffffff1f, v0, v9
	s_clause 0x3
	global_store_b128 v48, v[0:3], s[6:7]
	global_store_b128 v48, v[13:16], s[6:7] offset:16
	global_store_b128 v48, v[17:20], s[6:7] offset:32
	;; [unrolled: 1-line block ×3, first 2 shown]
	s_and_saveexec_b32 s1, s0
	s_cbranch_execz .LBB1_361
; %bb.354:                              ;   in Loop: Header=BB1_289 Depth=1
	s_clause 0x1
	global_load_b64 v[17:18], v10, s[2:3] offset:32 glc
	global_load_b64 v[0:1], v10, s[2:3] offset:40
	v_dual_mov_b32 v15, s4 :: v_dual_mov_b32 v16, s5
	s_waitcnt vmcnt(0)
	v_readfirstlane_b32 s6, v0
	v_readfirstlane_b32 s7, v1
	s_delay_alu instid0(VALU_DEP_1) | instskip(NEXT) | instid1(SALU_CYCLE_1)
	s_and_b64 s[6:7], s[6:7], s[4:5]
	s_mul_i32 s7, s7, 24
	s_mul_hi_u32 s13, s6, 24
	s_mul_i32 s6, s6, 24
	s_add_i32 s13, s13, s7
	v_add_co_u32 v13, vcc_lo, v25, s6
	v_add_co_ci_u32_e32 v14, vcc_lo, s13, v26, vcc_lo
	s_mov_b32 s6, exec_lo
	global_store_b64 v[13:14], v[17:18], off
	s_waitcnt_vscnt null, 0x0
	global_atomic_cmpswap_b64 v[2:3], v10, v[15:18], s[2:3] offset:32 glc
	s_waitcnt vmcnt(0)
	v_cmpx_ne_u64_e64 v[2:3], v[17:18]
	s_cbranch_execz .LBB1_357
; %bb.355:                              ;   in Loop: Header=BB1_289 Depth=1
	s_mov_b32 s7, 0
.LBB1_356:                              ;   Parent Loop BB1_289 Depth=1
                                        ; =>  This Inner Loop Header: Depth=2
	v_dual_mov_b32 v0, s4 :: v_dual_mov_b32 v1, s5
	s_sleep 1
	global_store_b64 v[13:14], v[2:3], off
	s_waitcnt_vscnt null, 0x0
	global_atomic_cmpswap_b64 v[0:1], v10, v[0:3], s[2:3] offset:32 glc
	s_waitcnt vmcnt(0)
	v_cmp_eq_u64_e32 vcc_lo, v[0:1], v[2:3]
	v_dual_mov_b32 v3, v1 :: v_dual_mov_b32 v2, v0
	s_or_b32 s7, vcc_lo, s7
	s_delay_alu instid0(SALU_CYCLE_1)
	s_and_not1_b32 exec_lo, exec_lo, s7
	s_cbranch_execnz .LBB1_356
.LBB1_357:                              ;   in Loop: Header=BB1_289 Depth=1
	s_or_b32 exec_lo, exec_lo, s6
	global_load_b64 v[0:1], v10, s[2:3] offset:16
	s_mov_b32 s7, exec_lo
	s_mov_b32 s6, exec_lo
	v_mbcnt_lo_u32_b32 v2, s7, 0
	s_delay_alu instid0(VALU_DEP_1)
	v_cmpx_eq_u32_e32 0, v2
	s_cbranch_execz .LBB1_359
; %bb.358:                              ;   in Loop: Header=BB1_289 Depth=1
	s_bcnt1_i32_b32 s7, s7
	s_delay_alu instid0(SALU_CYCLE_1)
	v_mov_b32_e32 v9, s7
	s_waitcnt vmcnt(0)
	global_atomic_add_u64 v[0:1], v[9:10], off offset:8
.LBB1_359:                              ;   in Loop: Header=BB1_289 Depth=1
	s_or_b32 exec_lo, exec_lo, s6
	s_waitcnt vmcnt(0)
	global_load_b64 v[2:3], v[0:1], off offset:16
	s_waitcnt vmcnt(0)
	v_cmp_eq_u64_e32 vcc_lo, 0, v[2:3]
	s_cbranch_vccnz .LBB1_361
; %bb.360:                              ;   in Loop: Header=BB1_289 Depth=1
	global_load_b32 v9, v[0:1], off offset:24
	s_waitcnt vmcnt(0)
	v_and_b32_e32 v0, 0xffffff, v9
	s_waitcnt_vscnt null, 0x0
	global_store_b64 v[2:3], v[9:10], off
	v_readfirstlane_b32 m0, v0
	s_sendmsg sendmsg(MSG_INTERRUPT)
.LBB1_361:                              ;   in Loop: Header=BB1_289 Depth=1
	s_or_b32 exec_lo, exec_lo, s1
	v_add_co_u32 v0, vcc_lo, v27, v48
	v_add_co_ci_u32_e32 v1, vcc_lo, 0, v28, vcc_lo
	s_branch .LBB1_365
	.p2align	6
.LBB1_362:                              ;   in Loop: Header=BB1_365 Depth=2
	s_or_b32 exec_lo, exec_lo, s1
	s_delay_alu instid0(VALU_DEP_1) | instskip(NEXT) | instid1(VALU_DEP_1)
	v_readfirstlane_b32 s1, v2
	s_cmp_eq_u32 s1, 0
	s_cbranch_scc1 .LBB1_364
; %bb.363:                              ;   in Loop: Header=BB1_365 Depth=2
	s_sleep 1
	s_cbranch_execnz .LBB1_365
	s_branch .LBB1_367
	.p2align	6
.LBB1_364:                              ;   in Loop: Header=BB1_289 Depth=1
	s_branch .LBB1_367
.LBB1_365:                              ;   Parent Loop BB1_289 Depth=1
                                        ; =>  This Inner Loop Header: Depth=2
	v_mov_b32_e32 v2, 1
	s_and_saveexec_b32 s1, s0
	s_cbranch_execz .LBB1_362
; %bb.366:                              ;   in Loop: Header=BB1_365 Depth=2
	global_load_b32 v2, v[33:34], off offset:20 glc
	s_waitcnt vmcnt(0)
	buffer_gl1_inv
	buffer_gl0_inv
	v_and_b32_e32 v2, 1, v2
	s_branch .LBB1_362
.LBB1_367:                              ;   in Loop: Header=BB1_289 Depth=1
	global_load_b128 v[0:3], v[0:1], off
	s_and_saveexec_b32 s1, s0
	s_cbranch_execz .LBB1_288
; %bb.368:                              ;   in Loop: Header=BB1_289 Depth=1
	s_clause 0x2
	global_load_b64 v[2:3], v10, s[2:3] offset:40
	global_load_b64 v[17:18], v10, s[2:3] offset:24 glc
	global_load_b64 v[15:16], v10, s[2:3]
	s_waitcnt vmcnt(2)
	v_add_co_u32 v9, vcc_lo, v2, 1
	v_add_co_ci_u32_e32 v19, vcc_lo, 0, v3, vcc_lo
	s_delay_alu instid0(VALU_DEP_2) | instskip(NEXT) | instid1(VALU_DEP_2)
	v_add_co_u32 v13, vcc_lo, v9, s4
	v_add_co_ci_u32_e32 v14, vcc_lo, s5, v19, vcc_lo
	s_delay_alu instid0(VALU_DEP_1) | instskip(SKIP_1) | instid1(VALU_DEP_1)
	v_cmp_eq_u64_e32 vcc_lo, 0, v[13:14]
	v_dual_cndmask_b32 v14, v14, v19 :: v_dual_cndmask_b32 v13, v13, v9
	v_and_b32_e32 v3, v14, v3
	s_delay_alu instid0(VALU_DEP_2) | instskip(NEXT) | instid1(VALU_DEP_2)
	v_and_b32_e32 v2, v13, v2
	v_mul_lo_u32 v3, v3, 24
	s_delay_alu instid0(VALU_DEP_2) | instskip(SKIP_1) | instid1(VALU_DEP_2)
	v_mul_hi_u32 v9, v2, 24
	v_mul_lo_u32 v2, v2, 24
	v_add_nc_u32_e32 v3, v9, v3
	s_waitcnt vmcnt(0)
	s_delay_alu instid0(VALU_DEP_2) | instskip(SKIP_1) | instid1(VALU_DEP_3)
	v_add_co_u32 v2, vcc_lo, v15, v2
	v_mov_b32_e32 v15, v17
	v_add_co_ci_u32_e32 v3, vcc_lo, v16, v3, vcc_lo
	v_mov_b32_e32 v16, v18
	global_store_b64 v[2:3], v[17:18], off
	s_waitcnt_vscnt null, 0x0
	global_atomic_cmpswap_b64 v[15:16], v10, v[13:16], s[2:3] offset:24 glc
	s_waitcnt vmcnt(0)
	v_cmp_ne_u64_e32 vcc_lo, v[15:16], v[17:18]
	s_and_b32 exec_lo, exec_lo, vcc_lo
	s_cbranch_execz .LBB1_288
; %bb.369:                              ;   in Loop: Header=BB1_289 Depth=1
	s_mov_b32 s0, 0
.LBB1_370:                              ;   Parent Loop BB1_289 Depth=1
                                        ; =>  This Inner Loop Header: Depth=2
	s_sleep 1
	global_store_b64 v[2:3], v[15:16], off
	s_waitcnt_vscnt null, 0x0
	global_atomic_cmpswap_b64 v[17:18], v10, v[13:16], s[2:3] offset:24 glc
	s_waitcnt vmcnt(0)
	v_cmp_eq_u64_e32 vcc_lo, v[17:18], v[15:16]
	v_dual_mov_b32 v15, v17 :: v_dual_mov_b32 v16, v18
	s_or_b32 s0, vcc_lo, s0
	s_delay_alu instid0(SALU_CYCLE_1)
	s_and_not1_b32 exec_lo, exec_lo, s0
	s_cbranch_execnz .LBB1_370
	s_branch .LBB1_288
.LBB1_371:
	s_or_b32 exec_lo, exec_lo, s11
                                        ; implicit-def: $vgpr48
                                        ; implicit-def: $vgpr49
.LBB1_372:
	s_and_not1_saveexec_b32 s1, s10
	s_cbranch_execz .LBB1_400
; %bb.373:
	v_readfirstlane_b32 s0, v49
	s_waitcnt vmcnt(0)
	v_mov_b32_e32 v3, 0
	v_mov_b32_e32 v4, 0
	s_delay_alu instid0(VALU_DEP_3) | instskip(NEXT) | instid1(VALU_DEP_1)
	v_cmp_eq_u32_e64 s0, s0, v49
	s_and_saveexec_b32 s4, s0
	s_cbranch_execz .LBB1_379
; %bb.374:
	v_mov_b32_e32 v2, 0
	s_mov_b32 s5, exec_lo
	global_load_b64 v[5:6], v2, s[2:3] offset:24 glc
	s_waitcnt vmcnt(0)
	buffer_gl1_inv
	buffer_gl0_inv
	s_clause 0x1
	global_load_b64 v[3:4], v2, s[2:3] offset:40
	global_load_b64 v[9:10], v2, s[2:3]
	s_waitcnt vmcnt(1)
	v_and_b32_e32 v3, v3, v5
	v_and_b32_e32 v4, v4, v6
	s_delay_alu instid0(VALU_DEP_2) | instskip(NEXT) | instid1(VALU_DEP_2)
	v_mul_hi_u32 v11, v3, 24
	v_mul_lo_u32 v4, v4, 24
	v_mul_lo_u32 v3, v3, 24
	s_delay_alu instid0(VALU_DEP_2) | instskip(SKIP_1) | instid1(VALU_DEP_2)
	v_add_nc_u32_e32 v4, v11, v4
	s_waitcnt vmcnt(0)
	v_add_co_u32 v3, vcc_lo, v9, v3
	s_delay_alu instid0(VALU_DEP_2)
	v_add_co_ci_u32_e32 v4, vcc_lo, v10, v4, vcc_lo
	global_load_b64 v[3:4], v[3:4], off glc
	s_waitcnt vmcnt(0)
	global_atomic_cmpswap_b64 v[3:4], v2, v[3:6], s[2:3] offset:24 glc
	s_waitcnt vmcnt(0)
	buffer_gl1_inv
	buffer_gl0_inv
	v_cmpx_ne_u64_e64 v[3:4], v[5:6]
	s_cbranch_execz .LBB1_378
; %bb.375:
	s_mov_b32 s6, 0
	.p2align	6
.LBB1_376:                              ; =>This Inner Loop Header: Depth=1
	s_sleep 1
	s_clause 0x1
	global_load_b64 v[9:10], v2, s[2:3] offset:40
	global_load_b64 v[11:12], v2, s[2:3]
	v_dual_mov_b32 v6, v4 :: v_dual_mov_b32 v5, v3
	s_waitcnt vmcnt(1)
	s_delay_alu instid0(VALU_DEP_1) | instskip(SKIP_1) | instid1(VALU_DEP_1)
	v_and_b32_e32 v9, v9, v5
	s_waitcnt vmcnt(0)
	v_mad_u64_u32 v[3:4], null, v9, 24, v[11:12]
	v_and_b32_e32 v11, v10, v6
	s_delay_alu instid0(VALU_DEP_1) | instskip(NEXT) | instid1(VALU_DEP_1)
	v_mad_u64_u32 v[9:10], null, v11, 24, v[4:5]
	v_mov_b32_e32 v4, v9
	global_load_b64 v[3:4], v[3:4], off glc
	s_waitcnt vmcnt(0)
	global_atomic_cmpswap_b64 v[3:4], v2, v[3:6], s[2:3] offset:24 glc
	s_waitcnt vmcnt(0)
	buffer_gl1_inv
	buffer_gl0_inv
	v_cmp_eq_u64_e32 vcc_lo, v[3:4], v[5:6]
	s_or_b32 s6, vcc_lo, s6
	s_delay_alu instid0(SALU_CYCLE_1)
	s_and_not1_b32 exec_lo, exec_lo, s6
	s_cbranch_execnz .LBB1_376
; %bb.377:
	s_or_b32 exec_lo, exec_lo, s6
.LBB1_378:
	s_delay_alu instid0(SALU_CYCLE_1)
	s_or_b32 exec_lo, exec_lo, s5
.LBB1_379:
	s_delay_alu instid0(SALU_CYCLE_1)
	s_or_b32 exec_lo, exec_lo, s4
	v_mov_b32_e32 v2, 0
	v_readfirstlane_b32 s4, v3
	v_readfirstlane_b32 s5, v4
	s_mov_b32 s10, exec_lo
	s_clause 0x1
	global_load_b64 v[5:6], v2, s[2:3] offset:40
	global_load_b128 v[9:12], v2, s[2:3]
	s_waitcnt vmcnt(1)
	v_readfirstlane_b32 s6, v5
	v_readfirstlane_b32 s7, v6
	s_delay_alu instid0(VALU_DEP_1) | instskip(NEXT) | instid1(SALU_CYCLE_1)
	s_and_b64 s[6:7], s[4:5], s[6:7]
	s_mul_i32 s11, s7, 24
	s_mul_hi_u32 s12, s6, 24
	s_mul_i32 s13, s6, 24
	s_add_i32 s12, s12, s11
	s_waitcnt vmcnt(0)
	v_add_co_u32 v4, vcc_lo, v9, s13
	v_add_co_ci_u32_e32 v5, vcc_lo, s12, v10, vcc_lo
	s_and_saveexec_b32 s11, s0
	s_cbranch_execz .LBB1_381
; %bb.380:
	v_dual_mov_b32 v13, s10 :: v_dual_mov_b32 v14, v2
	v_dual_mov_b32 v15, 2 :: v_dual_mov_b32 v16, 1
	global_store_b128 v[4:5], v[13:16], off offset:8
.LBB1_381:
	s_or_b32 exec_lo, exec_lo, s11
	s_lshl_b64 s[6:7], s[6:7], 12
	s_mov_b32 s12, 0
	v_add_co_u32 v6, vcc_lo, v11, s6
	v_add_co_ci_u32_e32 v12, vcc_lo, s7, v12, vcc_lo
	s_mov_b32 s15, s12
	s_delay_alu instid0(VALU_DEP_2)
	v_add_co_u32 v11, vcc_lo, v6, v48
	s_mov_b32 s13, s12
	s_mov_b32 s14, s12
	v_and_or_b32 v0, 0xffffff1f, v0, 32
	v_dual_mov_b32 v3, v2 :: v_dual_mov_b32 v16, s15
	v_readfirstlane_b32 s6, v6
	v_readfirstlane_b32 s7, v12
	v_add_co_ci_u32_e32 v12, vcc_lo, 0, v12, vcc_lo
	v_dual_mov_b32 v15, s14 :: v_dual_mov_b32 v14, s13
	v_mov_b32_e32 v13, s12
	s_clause 0x3
	global_store_b128 v48, v[0:3], s[6:7]
	global_store_b128 v48, v[13:16], s[6:7] offset:16
	global_store_b128 v48, v[13:16], s[6:7] offset:32
	;; [unrolled: 1-line block ×3, first 2 shown]
	s_and_saveexec_b32 s6, s0
	s_cbranch_execz .LBB1_389
; %bb.382:
	v_dual_mov_b32 v6, 0 :: v_dual_mov_b32 v13, s4
	v_mov_b32_e32 v14, s5
	s_clause 0x1
	global_load_b64 v[15:16], v6, s[2:3] offset:32 glc
	global_load_b64 v[0:1], v6, s[2:3] offset:40
	s_waitcnt vmcnt(0)
	v_readfirstlane_b32 s10, v0
	v_readfirstlane_b32 s11, v1
	s_delay_alu instid0(VALU_DEP_1) | instskip(NEXT) | instid1(SALU_CYCLE_1)
	s_and_b64 s[10:11], s[10:11], s[4:5]
	s_mul_i32 s7, s11, 24
	s_mul_hi_u32 s11, s10, 24
	s_mul_i32 s10, s10, 24
	s_add_i32 s11, s11, s7
	v_add_co_u32 v9, vcc_lo, v9, s10
	v_add_co_ci_u32_e32 v10, vcc_lo, s11, v10, vcc_lo
	s_mov_b32 s7, exec_lo
	global_store_b64 v[9:10], v[15:16], off
	s_waitcnt_vscnt null, 0x0
	global_atomic_cmpswap_b64 v[2:3], v6, v[13:16], s[2:3] offset:32 glc
	s_waitcnt vmcnt(0)
	v_cmpx_ne_u64_e64 v[2:3], v[15:16]
	s_cbranch_execz .LBB1_385
; %bb.383:
	s_mov_b32 s10, 0
.LBB1_384:                              ; =>This Inner Loop Header: Depth=1
	v_dual_mov_b32 v0, s4 :: v_dual_mov_b32 v1, s5
	s_sleep 1
	global_store_b64 v[9:10], v[2:3], off
	s_waitcnt_vscnt null, 0x0
	global_atomic_cmpswap_b64 v[0:1], v6, v[0:3], s[2:3] offset:32 glc
	s_waitcnt vmcnt(0)
	v_cmp_eq_u64_e32 vcc_lo, v[0:1], v[2:3]
	v_dual_mov_b32 v3, v1 :: v_dual_mov_b32 v2, v0
	s_or_b32 s10, vcc_lo, s10
	s_delay_alu instid0(SALU_CYCLE_1)
	s_and_not1_b32 exec_lo, exec_lo, s10
	s_cbranch_execnz .LBB1_384
.LBB1_385:
	s_or_b32 exec_lo, exec_lo, s7
	v_mov_b32_e32 v3, 0
	s_mov_b32 s10, exec_lo
	s_mov_b32 s7, exec_lo
	v_mbcnt_lo_u32_b32 v2, s10, 0
	global_load_b64 v[0:1], v3, s[2:3] offset:16
	v_cmpx_eq_u32_e32 0, v2
	s_cbranch_execz .LBB1_387
; %bb.386:
	s_bcnt1_i32_b32 s10, s10
	s_delay_alu instid0(SALU_CYCLE_1)
	v_mov_b32_e32 v2, s10
	s_waitcnt vmcnt(0)
	global_atomic_add_u64 v[0:1], v[2:3], off offset:8
.LBB1_387:
	s_or_b32 exec_lo, exec_lo, s7
	s_waitcnt vmcnt(0)
	global_load_b64 v[2:3], v[0:1], off offset:16
	s_waitcnt vmcnt(0)
	v_cmp_eq_u64_e32 vcc_lo, 0, v[2:3]
	s_cbranch_vccnz .LBB1_389
; %bb.388:
	global_load_b32 v0, v[0:1], off offset:24
	s_waitcnt vmcnt(0)
	v_dual_mov_b32 v1, 0 :: v_dual_and_b32 v6, 0xffffff, v0
	s_waitcnt_vscnt null, 0x0
	global_store_b64 v[2:3], v[0:1], off
	v_readfirstlane_b32 m0, v6
	s_sendmsg sendmsg(MSG_INTERRUPT)
.LBB1_389:
	s_or_b32 exec_lo, exec_lo, s6
	s_branch .LBB1_393
	.p2align	6
.LBB1_390:                              ;   in Loop: Header=BB1_393 Depth=1
	s_or_b32 exec_lo, exec_lo, s6
	s_delay_alu instid0(VALU_DEP_1) | instskip(NEXT) | instid1(VALU_DEP_1)
	v_readfirstlane_b32 s6, v0
	s_cmp_eq_u32 s6, 0
	s_cbranch_scc1 .LBB1_392
; %bb.391:                              ;   in Loop: Header=BB1_393 Depth=1
	s_sleep 1
	s_cbranch_execnz .LBB1_393
	s_branch .LBB1_395
	.p2align	6
.LBB1_392:
	s_branch .LBB1_395
.LBB1_393:                              ; =>This Inner Loop Header: Depth=1
	v_mov_b32_e32 v0, 1
	s_and_saveexec_b32 s6, s0
	s_cbranch_execz .LBB1_390
; %bb.394:                              ;   in Loop: Header=BB1_393 Depth=1
	global_load_b32 v0, v[4:5], off offset:20 glc
	s_waitcnt vmcnt(0)
	buffer_gl1_inv
	buffer_gl0_inv
	v_and_b32_e32 v0, 1, v0
	s_branch .LBB1_390
.LBB1_395:
	global_load_b64 v[0:1], v[11:12], off
	s_and_saveexec_b32 s6, s0
	s_cbranch_execz .LBB1_399
; %bb.396:
	v_mov_b32_e32 v6, 0
	s_clause 0x2
	global_load_b64 v[4:5], v6, s[2:3] offset:40
	global_load_b64 v[11:12], v6, s[2:3] offset:24 glc
	global_load_b64 v[9:10], v6, s[2:3]
	s_waitcnt vmcnt(2)
	v_add_co_u32 v13, vcc_lo, v4, 1
	v_add_co_ci_u32_e32 v14, vcc_lo, 0, v5, vcc_lo
	s_delay_alu instid0(VALU_DEP_2) | instskip(NEXT) | instid1(VALU_DEP_2)
	v_add_co_u32 v2, vcc_lo, v13, s4
	v_add_co_ci_u32_e32 v3, vcc_lo, s5, v14, vcc_lo
	s_delay_alu instid0(VALU_DEP_1) | instskip(SKIP_1) | instid1(VALU_DEP_1)
	v_cmp_eq_u64_e32 vcc_lo, 0, v[2:3]
	v_dual_cndmask_b32 v3, v3, v14 :: v_dual_cndmask_b32 v2, v2, v13
	v_and_b32_e32 v5, v3, v5
	s_delay_alu instid0(VALU_DEP_2) | instskip(NEXT) | instid1(VALU_DEP_2)
	v_and_b32_e32 v4, v2, v4
	v_mul_lo_u32 v5, v5, 24
	s_delay_alu instid0(VALU_DEP_2) | instskip(SKIP_1) | instid1(VALU_DEP_2)
	v_mul_hi_u32 v13, v4, 24
	v_mul_lo_u32 v4, v4, 24
	v_add_nc_u32_e32 v5, v13, v5
	s_waitcnt vmcnt(0)
	s_delay_alu instid0(VALU_DEP_2) | instskip(SKIP_1) | instid1(VALU_DEP_3)
	v_add_co_u32 v9, vcc_lo, v9, v4
	v_mov_b32_e32 v4, v11
	v_add_co_ci_u32_e32 v10, vcc_lo, v10, v5, vcc_lo
	v_mov_b32_e32 v5, v12
	global_store_b64 v[9:10], v[11:12], off
	s_waitcnt_vscnt null, 0x0
	global_atomic_cmpswap_b64 v[4:5], v6, v[2:5], s[2:3] offset:24 glc
	s_waitcnt vmcnt(0)
	v_cmp_ne_u64_e32 vcc_lo, v[4:5], v[11:12]
	s_and_b32 exec_lo, exec_lo, vcc_lo
	s_cbranch_execz .LBB1_399
; %bb.397:
	s_mov_b32 s0, 0
.LBB1_398:                              ; =>This Inner Loop Header: Depth=1
	s_sleep 1
	global_store_b64 v[9:10], v[4:5], off
	s_waitcnt_vscnt null, 0x0
	global_atomic_cmpswap_b64 v[11:12], v6, v[2:5], s[2:3] offset:24 glc
	s_waitcnt vmcnt(0)
	v_cmp_eq_u64_e32 vcc_lo, v[11:12], v[4:5]
	v_dual_mov_b32 v4, v11 :: v_dual_mov_b32 v5, v12
	s_or_b32 s0, vcc_lo, s0
	s_delay_alu instid0(SALU_CYCLE_1)
	s_and_not1_b32 exec_lo, exec_lo, s0
	s_cbranch_execnz .LBB1_398
.LBB1_399:
	s_or_b32 exec_lo, exec_lo, s6
.LBB1_400:
	s_delay_alu instid0(SALU_CYCLE_1)
	s_or_b32 exec_lo, exec_lo, s1
	s_waitcnt vmcnt(0)
	v_dual_mov_b32 v2, v7 :: v_dual_mov_b32 v3, v8
	s_mov_b32 s0, 0
.LBB1_401:                              ; =>This Inner Loop Header: Depth=1
	flat_load_u8 v6, v[2:3]
	v_add_co_u32 v4, vcc_lo, v2, 1
	v_add_co_ci_u32_e32 v5, vcc_lo, 0, v3, vcc_lo
	s_delay_alu instid0(VALU_DEP_1) | instskip(SKIP_3) | instid1(SALU_CYCLE_1)
	v_dual_mov_b32 v2, v4 :: v_dual_mov_b32 v3, v5
	s_waitcnt vmcnt(0) lgkmcnt(0)
	v_cmp_eq_u16_e32 vcc_lo, 0, v6
	s_or_b32 s0, vcc_lo, s0
	s_and_not1_b32 exec_lo, exec_lo, s0
	s_cbranch_execnz .LBB1_401
; %bb.402:
	s_or_b32 exec_lo, exec_lo, s0
	v_sub_nc_u32_e32 v4, v4, v7
	v_dual_mov_b32 v2, v7 :: v_dual_mov_b32 v3, v8
	v_mov_b32_e32 v6, 1
	s_getpc_b64 s[0:1]
	s_add_u32 s0, s0, __ockl_fprintf_append_string_n@rel32@lo+4
	s_addc_u32 s1, s1, __ockl_fprintf_append_string_n@rel32@hi+12
	v_ashrrev_i32_e32 v5, 31, v4
	s_swappc_b64 s[30:31], s[0:1]
	s_trap 2
	s_sendmsg_rtn_b32 s0, sendmsg(MSG_RTN_GET_DOORBELL)
	s_mov_b32 ttmp2, m0
	s_waitcnt lgkmcnt(0)
	s_and_b32 s0, s0, 0x3ff
	s_delay_alu instid0(SALU_CYCLE_1) | instskip(NEXT) | instid1(SALU_CYCLE_1)
	s_bitset1_b32 s0, 10
	s_mov_b32 m0, s0
	s_sendmsg sendmsg(MSG_INTERRUPT)
	s_mov_b32 m0, ttmp2
.LBB1_403:                              ; =>This Inner Loop Header: Depth=1
	s_sethalt 5
	s_branch .LBB1_403
.Lfunc_end1:
	.size	__assert_fail, .Lfunc_end1-__assert_fail
                                        ; -- End function
	.section	.AMDGPU.csdata,"",@progbits
; Function info:
; codeLenInByte = 17116
; NumSgprs: 36
; NumVgprs: 53
; ScratchSize: 64
; MemoryBound: 0
	.text
	.p2align	2                               ; -- Begin function _ZN3sop14minatoIsop5RecEjjiPNS_3SopEP7VecsMemIjLi8192EE
	.type	_ZN3sop14minatoIsop5RecEjjiPNS_3SopEP7VecsMemIjLi8192EE,@function
_ZN3sop14minatoIsop5RecEjjiPNS_3SopEP7VecsMemIjLi8192EE: ; @_ZN3sop14minatoIsop5RecEjjiPNS_3SopEP7VecsMemIjLi8192EE
; %bb.0:
	s_waitcnt vmcnt(0) expcnt(0) lgkmcnt(0)
	s_mov_b32 s0, s33
	s_mov_b32 s33, s32
	s_or_saveexec_b32 s1, -1
	scratch_store_b32 off, v59, s33 offset:104 ; 4-byte Folded Spill
	s_mov_b32 exec_lo, s1
	v_writelane_b32 v59, s0, 15
	s_addk_i32 s32, 0x70
	s_clause 0xa
	scratch_store_b32 off, v40, s33 offset:40
	; meta instruction
	scratch_store_b32 off, v41, s33 offset:36
	; meta instruction
	;; [unrolled: 2-line block ×10, first 2 shown]
	scratch_store_b32 off, v58, s33
	v_writelane_b32 v59, s34, 0
	v_writelane_b32 v59, s35, 1
	;; [unrolled: 1-line block ×15, first 2 shown]
	v_mov_b32_e32 v53, v0
	v_not_b32_e32 v0, v1
	v_dual_mov_b32 v45, v6 :: v_dual_mov_b32 v44, v5
	v_dual_mov_b32 v42, v4 :: v_dual_mov_b32 v41, v3
	s_delay_alu instid0(VALU_DEP_3)
	v_and_b32_e32 v0, v0, v53
	s_mov_b64 s[34:35], s[8:9]
	s_mov_b32 s17, 0
	s_mov_b32 s36, 0
	s_mov_b32 s0, exec_lo
	v_cmpx_ne_u32_e32 0, v0
	s_xor_b32 s18, exec_lo, s0
	s_cbranch_execz .LBB2_2
; %bb.1:
	s_getpc_b64 s[0:1]
	s_add_u32 s0, s0, .str.27@rel32@lo+4
	s_addc_u32 s1, s1, .str.27@rel32@hi+12
	s_getpc_b64 s[2:3]
	s_add_u32 s2, s2, .str.16@rel32@lo+4
	s_addc_u32 s3, s3, .str.16@rel32@hi+12
	s_getpc_b64 s[4:5]
	s_add_u32 s4, s4, __PRETTY_FUNCTION__._ZN3sop14minatoIsop5RecEjjiPNS_3SopEP7VecsMemIjLi8192EE@rel32@lo+4
	s_addc_u32 s5, s5, __PRETTY_FUNCTION__._ZN3sop14minatoIsop5RecEjjiPNS_3SopEP7VecsMemIjLi8192EE@rel32@hi+12
	v_dual_mov_b32 v0, s0 :: v_dual_mov_b32 v1, s1
	v_dual_mov_b32 v2, s2 :: v_dual_mov_b32 v3, s3
	;; [unrolled: 1-line block ×3, first 2 shown]
	v_mov_b32_e32 v6, s5
	s_mov_b64 s[8:9], s[34:35]
	s_getpc_b64 s[6:7]
	s_add_u32 s6, s6, __assert_fail@rel32@lo+4
	s_addc_u32 s7, s7, __assert_fail@rel32@hi+12
	s_delay_alu instid0(SALU_CYCLE_1)
	s_swappc_b64 s[30:31], s[6:7]
	s_mov_b32 s36, exec_lo
                                        ; implicit-def: $vgpr53
                                        ; implicit-def: $vgpr44
                                        ; implicit-def: $vgpr1
                                        ; implicit-def: $vgpr2
.LBB2_2:
	s_or_saveexec_b32 s37, s18
	s_mov_b32 s0, 0
                                        ; implicit-def: $vgpr0
	s_xor_b32 exec_lo, exec_lo, s37
	s_cbranch_execz .LBB2_7
; %bb.3:
	s_mov_b32 s1, -1
	s_mov_b32 s2, s36
	s_mov_b32 s38, exec_lo
                                        ; implicit-def: $vgpr0
	v_cmpx_ne_u32_e32 0, v53
	s_cbranch_execz .LBB2_381
; %bb.4:
	s_mov_b32 s0, -1
	s_mov_b32 s18, 0
	s_mov_b32 s17, s36
                                        ; implicit-def: $vgpr0
	s_mov_b32 s1, exec_lo
	v_cmpx_ne_u32_e32 -1, v1
	s_xor_b32 s39, exec_lo, s1
	s_cbranch_execz .LBB2_122
; %bb.5:
	s_mov_b32 s17, 0
	s_mov_b32 s40, 0
	s_mov_b32 s11, exec_lo
                                        ; implicit-def: $vgpr54
                                        ; implicit-def: $vgpr43
                                        ; implicit-def: $vgpr55
                                        ; implicit-def: $vgpr64
                                        ; implicit-def: $vgpr65
                                        ; implicit-def: $vgpr66
	v_cmpx_lt_i32_e32 0, v2
	s_cbranch_execz .LBB2_48
; %bb.6:
	v_lshrrev_b32_e32 v0, 8, v53
	v_lshrrev_b32_e32 v3, 4, v53
	;; [unrolled: 1-line block ×4, first 2 shown]
	v_and_b32_e32 v66, 0xffff, v53
	v_xor_b32_e32 v0, v0, v53
	v_xor_b32_e32 v3, v3, v53
	;; [unrolled: 1-line block ×4, first 2 shown]
	v_lshrrev_b32_e32 v65, 16, v53
	v_and_b32_e32 v0, 0xff00ff, v0
	v_and_b32_e32 v3, 0xf0f0f0f, v3
	;; [unrolled: 1-line block ×5, first 2 shown]
	v_cmp_eq_u32_e64 s0, 0, v0
	v_cmp_eq_u32_e64 s1, 0, v3
	v_cmp_eq_u32_e64 s2, 0, v4
	v_cmp_eq_u32_e64 s3, 0, v5
	v_lshrrev_b32_e32 v0, 8, v1
	v_lshrrev_b32_e32 v3, 4, v1
	;; [unrolled: 1-line block ×5, first 2 shown]
	v_xor_b32_e32 v0, v0, v1
	v_xor_b32_e32 v3, v3, v1
	v_xor_b32_e32 v4, v4, v1
	v_xor_b32_e32 v5, v5, v1
	v_cmp_eq_u32_e32 vcc_lo, v66, v65
	v_and_b32_e32 v0, 0xff00ff, v0
	v_and_b32_e32 v3, 0xf0f0f0f, v3
	v_and_b32_e32 v4, 0x33333333, v4
	v_and_b32_e32 v5, 0x55555555, v5
	v_cmp_eq_u32_e64 s4, v64, v55
	v_cmp_eq_u32_e64 s5, 0, v0
	;; [unrolled: 1-line block ×5, first 2 shown]
	v_cmp_gt_u32_e64 s9, 6, v2
	s_mov_b32 s14, 0
                                        ; implicit-def: $sgpr13
                                        ; implicit-def: $sgpr12
                                        ; implicit-def: $sgpr15
                                        ; implicit-def: $sgpr17
                                        ; implicit-def: $sgpr16
	s_branch .LBB2_12
.LBB2_7:
	s_or_b32 exec_lo, exec_lo, s37
	s_and_saveexec_b32 s1, s36
	s_delay_alu instid0(SALU_CYCLE_1)
	s_xor_b32 s1, exec_lo, s1
	s_cbranch_execz .LBB2_382
.LBB2_8:
	; divergent unreachable
                                        ; implicit-def: $vgpr0
	s_or_b32 exec_lo, exec_lo, s1
	s_and_saveexec_b32 s1, s17
	s_cbranch_execnz .LBB2_383
	s_branch .LBB2_384
.LBB2_9:                                ;   in Loop: Header=BB2_12 Depth=1
	s_or_b32 exec_lo, exec_lo, s25
	s_delay_alu instid0(SALU_CYCLE_1)
	s_and_not1_b32 s20, s20, exec_lo
	s_and_b32 s22, s22, exec_lo
	s_and_not1_b32 s19, s19, exec_lo
	s_and_b32 s23, s23, exec_lo
	v_mov_b32_e32 v2, v0
	s_or_b32 s20, s20, s22
	s_or_b32 s19, s19, s23
	s_or_not1_b32 s10, s10, exec_lo
.LBB2_10:                               ;   in Loop: Header=BB2_12 Depth=1
	s_or_b32 exec_lo, exec_lo, s21
	s_delay_alu instid0(SALU_CYCLE_1)
	s_and_not1_b32 s16, s16, exec_lo
	s_and_b32 s20, s20, exec_lo
	s_and_not1_b32 s17, s17, exec_lo
	s_and_b32 s19, s19, exec_lo
	;; [unrolled: 2-line block ×3, first 2 shown]
	s_or_b32 s16, s16, s20
	s_or_b32 s17, s17, s19
	;; [unrolled: 1-line block ×3, first 2 shown]
.LBB2_11:                               ;   in Loop: Header=BB2_12 Depth=1
	s_or_b32 exec_lo, exec_lo, s18
	s_xor_b32 s10, s16, -1
	s_xor_b32 s18, s17, -1
	s_and_b32 s19, exec_lo, s15
	s_delay_alu instid0(SALU_CYCLE_1)
	s_or_b32 s14, s19, s14
	s_and_not1_b32 s12, s12, exec_lo
	s_and_b32 s10, s10, exec_lo
	s_and_not1_b32 s13, s13, exec_lo
	s_and_b32 s18, s18, exec_lo
	s_or_b32 s12, s12, s10
	s_or_b32 s13, s13, s18
	s_and_not1_b32 exec_lo, exec_lo, s14
	s_cbranch_execz .LBB2_230
.LBB2_12:                               ; =>This Inner Loop Header: Depth=1
	s_and_not1_b32 s16, s16, exec_lo
	s_or_b32 s17, s17, exec_lo
	s_or_b32 s15, s15, exec_lo
                                        ; implicit-def: $vgpr43
                                        ; implicit-def: $vgpr54
	s_and_saveexec_b32 s18, s9
	s_cbranch_execz .LBB2_11
; %bb.13:                               ;   in Loop: Header=BB2_12 Depth=1
	v_add_nc_u32_e32 v0, -1, v2
	s_mov_b32 s19, -1
	s_mov_b32 s22, 0
	s_mov_b32 s20, 0
	s_mov_b32 s21, exec_lo
                                        ; implicit-def: $vgpr43
                                        ; implicit-def: $vgpr54
	v_cmpx_lt_i32_e32 3, v2
	s_xor_b32 s21, exec_lo, s21
	s_cbranch_execz .LBB2_20
; %bb.14:                               ;   in Loop: Header=BB2_12 Depth=1
	v_cmp_lt_i32_e64 s10, 4, v2
                                        ; implicit-def: $sgpr24
                                        ; implicit-def: $sgpr23
	s_delay_alu instid0(VALU_DEP_1) | instskip(NEXT) | instid1(SALU_CYCLE_1)
	s_and_saveexec_b32 s25, s10
	s_xor_b32 s10, exec_lo, s25
; %bb.15:                               ;   in Loop: Header=BB2_12 Depth=1
	s_mov_b32 s20, exec_lo
	s_mov_b32 s23, 5
	s_mov_b32 s24, 4
	s_and_b32 s22, vcc_lo, exec_lo
	s_xor_b32 s19, exec_lo, -1
; %bb.16:                               ;   in Loop: Header=BB2_12 Depth=1
	s_or_saveexec_b32 s10, s10
	v_dual_mov_b32 v43, s24 :: v_dual_mov_b32 v54, s23
	s_xor_b32 exec_lo, exec_lo, s10
; %bb.17:                               ;   in Loop: Header=BB2_12 Depth=1
	v_dual_mov_b32 v54, 4 :: v_dual_mov_b32 v43, v0
	s_and_not1_b32 s22, s22, exec_lo
	s_and_b32 s23, s0, exec_lo
	s_or_b32 s20, s20, exec_lo
	s_and_not1_b32 s19, s19, exec_lo
	s_or_b32 s22, s22, s23
; %bb.18:                               ;   in Loop: Header=BB2_12 Depth=1
	s_or_b32 exec_lo, exec_lo, s10
	s_delay_alu instid0(SALU_CYCLE_1)
	s_and_b32 s20, s20, exec_lo
	s_or_not1_b32 s19, s19, exec_lo
	s_and_b32 s22, s22, exec_lo
	s_and_not1_saveexec_b32 s21, s21
	s_cbranch_execnz .LBB2_21
.LBB2_19:                               ;   in Loop: Header=BB2_12 Depth=1
	s_or_b32 exec_lo, exec_lo, s21
	s_mov_b32 s10, -1
	s_and_saveexec_b32 s21, s22
	s_cbranch_execz .LBB2_10
	s_branch .LBB2_30
.LBB2_20:                               ;   in Loop: Header=BB2_12 Depth=1
	s_and_not1_saveexec_b32 s21, s21
	s_cbranch_execz .LBB2_19
.LBB2_21:                               ;   in Loop: Header=BB2_12 Depth=1
	v_cmp_lt_i32_e64 s10, 2, v2
	s_mov_b32 s24, s22
	s_mov_b32 s25, s19
	s_mov_b32 s23, s20
	s_delay_alu instid0(VALU_DEP_1) | instskip(NEXT) | instid1(SALU_CYCLE_1)
	s_and_saveexec_b32 s26, s10
	s_xor_b32 s10, exec_lo, s26
; %bb.22:                               ;   in Loop: Header=BB2_12 Depth=1
	s_and_not1_b32 s24, s22, exec_lo
	s_and_b32 s26, s1, exec_lo
	v_dual_mov_b32 v54, 3 :: v_dual_mov_b32 v43, v0
	s_or_b32 s23, s20, exec_lo
	s_and_not1_b32 s25, s19, exec_lo
	s_or_b32 s24, s24, s26
; %bb.23:                               ;   in Loop: Header=BB2_12 Depth=1
	s_and_not1_saveexec_b32 s26, s10
	s_cbranch_execz .LBB2_29
; %bb.24:                               ;   in Loop: Header=BB2_12 Depth=1
	v_cmp_ne_u32_e64 s10, 2, v2
	s_mov_b32 s29, s24
	s_mov_b32 s28, s25
	;; [unrolled: 1-line block ×3, first 2 shown]
	s_delay_alu instid0(VALU_DEP_1) | instskip(NEXT) | instid1(SALU_CYCLE_1)
	s_and_saveexec_b32 vcc_hi, s10
	s_xor_b32 s10, exec_lo, vcc_hi
; %bb.25:                               ;   in Loop: Header=BB2_12 Depth=1
	s_and_not1_b32 s29, s24, exec_lo
	s_and_b32 vcc_hi, s3, exec_lo
	v_dual_mov_b32 v54, 1 :: v_dual_mov_b32 v43, v0
	s_or_b32 s27, s23, exec_lo
	s_and_not1_b32 s28, s25, exec_lo
	s_or_b32 s29, s29, vcc_hi
; %bb.26:                               ;   in Loop: Header=BB2_12 Depth=1
	s_and_not1_saveexec_b32 s10, s10
; %bb.27:                               ;   in Loop: Header=BB2_12 Depth=1
	v_dual_mov_b32 v54, 2 :: v_dual_mov_b32 v43, v0
	s_and_not1_b32 s29, s29, exec_lo
	s_and_b32 vcc_hi, s2, exec_lo
	s_or_b32 s27, s27, exec_lo
	s_and_not1_b32 s28, s28, exec_lo
	s_or_b32 s29, s29, vcc_hi
; %bb.28:                               ;   in Loop: Header=BB2_12 Depth=1
	s_or_b32 exec_lo, exec_lo, s10
	s_delay_alu instid0(SALU_CYCLE_1)
	s_and_not1_b32 s10, s23, exec_lo
	s_and_b32 s23, s27, exec_lo
	s_and_not1_b32 s24, s24, exec_lo
	s_or_b32 s23, s10, s23
	s_and_not1_b32 s10, s25, exec_lo
	s_and_b32 s25, s28, exec_lo
	s_and_b32 s27, s29, exec_lo
	s_or_b32 s25, s10, s25
	s_or_b32 s24, s24, s27
.LBB2_29:                               ;   in Loop: Header=BB2_12 Depth=1
	s_or_b32 exec_lo, exec_lo, s26
	s_delay_alu instid0(SALU_CYCLE_1)
	s_and_not1_b32 s10, s20, exec_lo
	s_and_b32 s20, s23, exec_lo
	s_and_not1_b32 s22, s22, exec_lo
	s_or_b32 s20, s10, s20
	s_and_not1_b32 s10, s19, exec_lo
	s_and_b32 s19, s25, exec_lo
	s_and_b32 s23, s24, exec_lo
	s_or_b32 s19, s10, s19
	s_or_b32 s22, s22, s23
	s_or_b32 exec_lo, exec_lo, s21
	s_mov_b32 s10, -1
	s_and_saveexec_b32 s21, s22
	s_cbranch_execz .LBB2_10
.LBB2_30:                               ;   in Loop: Header=BB2_12 Depth=1
	s_mov_b32 s24, 0
	s_mov_b32 s23, s19
	;; [unrolled: 1-line block ×3, first 2 shown]
	s_mov_b32 s25, exec_lo
	v_cmpx_lt_i32_e32 3, v2
	s_xor_b32 s25, exec_lo, s25
	s_cbranch_execz .LBB2_37
; %bb.31:                               ;   in Loop: Header=BB2_12 Depth=1
	v_cmp_lt_i32_e64 s10, 4, v2
	s_mov_b32 s22, s19
	s_mov_b32 s23, s20
	s_delay_alu instid0(VALU_DEP_1) | instskip(NEXT) | instid1(SALU_CYCLE_1)
	s_and_saveexec_b32 s26, s10
	s_xor_b32 s10, exec_lo, s26
; %bb.32:                               ;   in Loop: Header=BB2_12 Depth=1
	v_dual_mov_b32 v54, 5 :: v_dual_mov_b32 v43, v0
	s_or_b32 s23, s20, exec_lo
	s_and_not1_b32 s22, s19, exec_lo
	s_and_b32 s24, s4, exec_lo
; %bb.33:                               ;   in Loop: Header=BB2_12 Depth=1
	s_and_not1_saveexec_b32 s10, s10
; %bb.34:                               ;   in Loop: Header=BB2_12 Depth=1
	v_dual_mov_b32 v54, 4 :: v_dual_mov_b32 v43, v0
	s_and_not1_b32 s24, s24, exec_lo
	s_and_b32 s26, s5, exec_lo
	s_or_b32 s23, s23, exec_lo
	s_and_not1_b32 s22, s22, exec_lo
	s_or_b32 s24, s24, s26
; %bb.35:                               ;   in Loop: Header=BB2_12 Depth=1
	s_or_b32 exec_lo, exec_lo, s10
	s_delay_alu instid0(SALU_CYCLE_1)
	s_and_not1_b32 s10, s20, exec_lo
	s_and_b32 s23, s23, exec_lo
	s_and_not1_b32 s26, s19, exec_lo
	s_and_b32 s27, s22, exec_lo
	s_or_b32 s22, s10, s23
	s_or_b32 s23, s26, s27
	s_and_b32 s24, s24, exec_lo
	s_and_not1_saveexec_b32 s25, s25
	s_cbranch_execnz .LBB2_38
.LBB2_36:                               ;   in Loop: Header=BB2_12 Depth=1
	s_or_b32 exec_lo, exec_lo, s25
	s_mov_b32 s10, -1
	s_and_saveexec_b32 s25, s24
	s_cbranch_execz .LBB2_9
	s_branch .LBB2_47
.LBB2_37:                               ;   in Loop: Header=BB2_12 Depth=1
	s_and_not1_saveexec_b32 s25, s25
	s_cbranch_execz .LBB2_36
.LBB2_38:                               ;   in Loop: Header=BB2_12 Depth=1
	v_cmp_lt_i32_e64 s10, 2, v2
	s_mov_b32 s27, s24
	s_mov_b32 s28, s23
	;; [unrolled: 1-line block ×3, first 2 shown]
	s_delay_alu instid0(VALU_DEP_1) | instskip(NEXT) | instid1(SALU_CYCLE_1)
	s_and_saveexec_b32 s29, s10
	s_xor_b32 s10, exec_lo, s29
; %bb.39:                               ;   in Loop: Header=BB2_12 Depth=1
	s_and_not1_b32 s27, s24, exec_lo
	s_and_b32 s29, s6, exec_lo
	v_dual_mov_b32 v54, 3 :: v_dual_mov_b32 v43, v0
	s_or_b32 s26, s22, exec_lo
	s_and_not1_b32 s28, s23, exec_lo
	s_or_b32 s27, s27, s29
; %bb.40:                               ;   in Loop: Header=BB2_12 Depth=1
	s_and_not1_saveexec_b32 s29, s10
	s_cbranch_execz .LBB2_46
; %bb.41:                               ;   in Loop: Header=BB2_12 Depth=1
	v_cmp_ne_u32_e64 s10, 2, v2
	s_mov_b32 s31, s27
	s_mov_b32 s30, s28
	s_mov_b32 vcc_hi, s26
	s_delay_alu instid0(VALU_DEP_1) | instskip(NEXT) | instid1(SALU_CYCLE_1)
	s_and_saveexec_b32 s40, s10
	s_xor_b32 s10, exec_lo, s40
; %bb.42:                               ;   in Loop: Header=BB2_12 Depth=1
	s_and_not1_b32 s31, s27, exec_lo
	s_and_b32 s40, s8, exec_lo
	v_dual_mov_b32 v54, 1 :: v_dual_mov_b32 v43, v0
	s_or_b32 vcc_hi, s26, exec_lo
	s_and_not1_b32 s30, s28, exec_lo
	s_or_b32 s31, s31, s40
; %bb.43:                               ;   in Loop: Header=BB2_12 Depth=1
	s_and_not1_saveexec_b32 s10, s10
; %bb.44:                               ;   in Loop: Header=BB2_12 Depth=1
	v_dual_mov_b32 v54, 2 :: v_dual_mov_b32 v43, v0
	s_and_not1_b32 s31, s31, exec_lo
	s_and_b32 s40, s7, exec_lo
	s_or_b32 vcc_hi, vcc_hi, exec_lo
	s_and_not1_b32 s30, s30, exec_lo
	s_or_b32 s31, s31, s40
; %bb.45:                               ;   in Loop: Header=BB2_12 Depth=1
	s_or_b32 exec_lo, exec_lo, s10
	s_delay_alu instid0(SALU_CYCLE_1)
	s_and_not1_b32 s10, s26, exec_lo
	s_and_b32 s26, vcc_hi, exec_lo
	s_and_not1_b32 s27, s27, exec_lo
	s_or_b32 s26, s10, s26
	s_and_not1_b32 s10, s28, exec_lo
	s_and_b32 s28, s30, exec_lo
	s_and_b32 vcc_hi, s31, exec_lo
	s_or_b32 s28, s10, s28
	s_or_b32 s27, s27, vcc_hi
.LBB2_46:                               ;   in Loop: Header=BB2_12 Depth=1
	s_or_b32 exec_lo, exec_lo, s29
	s_delay_alu instid0(SALU_CYCLE_1)
	s_and_not1_b32 s10, s22, exec_lo
	s_and_b32 s22, s26, exec_lo
	s_and_not1_b32 s24, s24, exec_lo
	s_or_b32 s22, s10, s22
	s_and_not1_b32 s10, s23, exec_lo
	s_and_b32 s23, s28, exec_lo
	s_and_b32 s26, s27, exec_lo
	s_or_b32 s23, s10, s23
	s_or_b32 s24, s24, s26
	s_or_b32 exec_lo, exec_lo, s25
	s_mov_b32 s10, -1
	s_and_saveexec_b32 s25, s24
	s_cbranch_execz .LBB2_9
.LBB2_47:                               ;   in Loop: Header=BB2_12 Depth=1
	v_cmp_gt_i32_e64 s10, 2, v2
	s_and_not1_b32 s22, s22, exec_lo
	s_and_not1_b32 s23, s23, exec_lo
                                        ; implicit-def: $vgpr43
                                        ; implicit-def: $vgpr54
	s_delay_alu instid0(VALU_DEP_1)
	s_or_not1_b32 s10, s10, exec_lo
	s_branch .LBB2_9
.LBB2_48:
	s_or_b32 exec_lo, exec_lo, s11
	s_mov_b32 s41, s36
	s_and_saveexec_b32 s18, s0
	s_cbranch_execz .LBB2_50
.LBB2_49:
	s_getpc_b64 s[0:1]
	s_add_u32 s0, s0, .str.21@rel32@lo+4
	s_addc_u32 s1, s1, .str.21@rel32@hi+12
	s_getpc_b64 s[2:3]
	s_add_u32 s2, s2, .str.16@rel32@lo+4
	s_addc_u32 s3, s3, .str.16@rel32@hi+12
	s_getpc_b64 s[4:5]
	s_add_u32 s4, s4, __PRETTY_FUNCTION__._ZN3sop14minatoIsop5RecEjjiPNS_3SopEP7VecsMemIjLi8192EE@rel32@lo+4
	s_addc_u32 s5, s5, __PRETTY_FUNCTION__._ZN3sop14minatoIsop5RecEjjiPNS_3SopEP7VecsMemIjLi8192EE@rel32@hi+12
	v_dual_mov_b32 v0, s0 :: v_dual_mov_b32 v67, v1
	v_dual_mov_b32 v1, s1 :: v_dual_mov_b32 v2, s2
	;; [unrolled: 1-line block ×4, first 2 shown]
	s_mov_b64 s[8:9], s[34:35]
	s_getpc_b64 s[6:7]
	s_add_u32 s6, s6, __assert_fail@rel32@lo+4
	s_addc_u32 s7, s7, __assert_fail@rel32@hi+12
	s_delay_alu instid0(SALU_CYCLE_1)
	s_swappc_b64 s[30:31], s[6:7]
	v_mov_b32_e32 v1, v67
	s_or_b32 s41, s36, exec_lo
	s_and_not1_b32 s17, s17, exec_lo
.LBB2_50:
	s_or_b32 exec_lo, exec_lo, s18
	s_mov_b32 s18, 0
                                        ; implicit-def: $vgpr0
	s_and_saveexec_b32 s42, s17
	s_cbranch_execz .LBB2_119
; %bb.51:
	s_mov_b32 s0, exec_lo
                                        ; implicit-def: $vgpr57
	v_cmpx_lt_i32_e32 3, v54
	s_xor_b32 s0, exec_lo, s0
	s_cbranch_execz .LBB2_57
; %bb.52:
	s_mov_b32 s1, exec_lo
                                        ; implicit-def: $vgpr57
	v_cmpx_lt_i32_e32 4, v54
	s_xor_b32 s1, exec_lo, s1
; %bb.53:
	v_mul_u32_u24_e32 v57, 0x10001, v66
; %bb.54:
	s_and_not1_saveexec_b32 s1, s1
; %bb.55:
	v_and_b32_e32 v0, 0xff00ff, v53
	s_delay_alu instid0(VALU_DEP_1)
	v_mul_u32_u24_e32 v57, 0x101, v0
; %bb.56:
	s_or_b32 exec_lo, exec_lo, s1
.LBB2_57:
	s_and_not1_saveexec_b32 s0, s0
	s_cbranch_execz .LBB2_67
; %bb.58:
	s_mov_b32 s1, exec_lo
                                        ; implicit-def: $vgpr57
	v_cmpx_lt_i32_e32 2, v54
	s_xor_b32 s1, exec_lo, s1
; %bb.59:
	v_and_b32_e32 v0, 0xf0f0f0f, v53
	s_delay_alu instid0(VALU_DEP_1)
	v_lshl_add_u32 v57, v0, 4, v0
; %bb.60:
	s_and_not1_saveexec_b32 s1, s1
	s_cbranch_execz .LBB2_66
; %bb.61:
	s_mov_b32 s2, exec_lo
                                        ; implicit-def: $vgpr57
	v_cmpx_ne_u32_e32 2, v54
	s_xor_b32 s2, exec_lo, s2
; %bb.62:
	v_and_b32_e32 v0, 0x55555555, v53
	s_delay_alu instid0(VALU_DEP_1)
	v_lshl_add_u32 v57, v0, 1, v0
; %bb.63:
	s_and_not1_saveexec_b32 s2, s2
; %bb.64:
	v_and_b32_e32 v0, 0x33333333, v53
	s_delay_alu instid0(VALU_DEP_1)
	v_lshl_add_u32 v57, v0, 2, v0
; %bb.65:
	s_or_b32 exec_lo, exec_lo, s2
.LBB2_66:
	s_delay_alu instid0(SALU_CYCLE_1)
	s_or_b32 exec_lo, exec_lo, s1
.LBB2_67:
	s_delay_alu instid0(SALU_CYCLE_1) | instskip(NEXT) | instid1(SALU_CYCLE_1)
	s_or_b32 exec_lo, exec_lo, s0
	s_mov_b32 s0, exec_lo
                                        ; implicit-def: $vgpr58
	v_cmpx_lt_i32_e32 3, v54
	s_xor_b32 s0, exec_lo, s0
	s_cbranch_execz .LBB2_73
; %bb.68:
	s_mov_b32 s1, exec_lo
                                        ; implicit-def: $vgpr58
	v_cmpx_lt_i32_e32 4, v54
	s_xor_b32 s1, exec_lo, s1
	s_cbranch_execz .LBB2_70
; %bb.69:
	v_mul_u32_u24_e32 v58, 0x10001, v65
                                        ; implicit-def: $vgpr53
	scratch_store_b32 off, v58, s33 offset:96
.LBB2_70:
	s_and_not1_saveexec_b32 s1, s1
	s_cbranch_execz .LBB2_72
; %bb.71:
	v_and_b32_e32 v0, 0xff00ff00, v53
	s_delay_alu instid0(VALU_DEP_1) | instskip(NEXT) | instid1(VALU_DEP_1)
	v_lshrrev_b32_e32 v2, 8, v0
	v_or_b32_e32 v58, v2, v0
	scratch_store_b32 off, v58, s33 offset:96
.LBB2_72:
	s_or_b32 exec_lo, exec_lo, s1
                                        ; implicit-def: $vgpr53
.LBB2_73:
	s_and_not1_saveexec_b32 s0, s0
	s_cbranch_execz .LBB2_83
; %bb.74:
	s_mov_b32 s1, exec_lo
                                        ; implicit-def: $vgpr58
	v_cmpx_lt_i32_e32 2, v54
	s_xor_b32 s1, exec_lo, s1
	s_cbranch_execz .LBB2_76
; %bb.75:
	v_and_b32_e32 v0, 0xf0f0f0f0, v53
                                        ; implicit-def: $vgpr53
	s_delay_alu instid0(VALU_DEP_1) | instskip(NEXT) | instid1(VALU_DEP_1)
	v_lshrrev_b32_e32 v2, 4, v0
	v_or_b32_e32 v58, v2, v0
	scratch_store_b32 off, v58, s33 offset:96
.LBB2_76:
	s_and_not1_saveexec_b32 s1, s1
	s_cbranch_execz .LBB2_82
; %bb.77:
	s_mov_b32 s2, exec_lo
                                        ; implicit-def: $vgpr58
	v_cmpx_ne_u32_e32 2, v54
	s_xor_b32 s2, exec_lo, s2
	s_cbranch_execz .LBB2_79
; %bb.78:
	v_and_b32_e32 v0, 0xaaaaaaaa, v53
                                        ; implicit-def: $vgpr53
	s_delay_alu instid0(VALU_DEP_1) | instskip(NEXT) | instid1(VALU_DEP_1)
	v_lshrrev_b32_e32 v2, 1, v0
	v_or_b32_e32 v58, v2, v0
	scratch_store_b32 off, v58, s33 offset:96
.LBB2_79:
	s_and_not1_saveexec_b32 s2, s2
	s_cbranch_execz .LBB2_81
; %bb.80:
	v_and_b32_e32 v0, 0xcccccccc, v53
	s_delay_alu instid0(VALU_DEP_1) | instskip(NEXT) | instid1(VALU_DEP_1)
	v_lshrrev_b32_e32 v2, 2, v0
	v_or_b32_e32 v58, v2, v0
	scratch_store_b32 off, v58, s33 offset:96
.LBB2_81:
	s_or_b32 exec_lo, exec_lo, s2
.LBB2_82:
	s_delay_alu instid0(SALU_CYCLE_1)
	s_or_b32 exec_lo, exec_lo, s1
.LBB2_83:
	s_delay_alu instid0(SALU_CYCLE_1) | instskip(NEXT) | instid1(SALU_CYCLE_1)
	s_or_b32 exec_lo, exec_lo, s0
	s_mov_b32 s0, exec_lo
                                        ; implicit-def: $vgpr40
	v_cmpx_lt_i32_e32 2, v54
	s_xor_b32 s0, exec_lo, s0
	s_cbranch_execz .LBB2_95
; %bb.84:
	s_mov_b32 s1, exec_lo
                                        ; implicit-def: $vgpr40
	v_cmpx_lt_i32_e32 3, v54
	s_xor_b32 s1, exec_lo, s1
	s_cbranch_execz .LBB2_92
; %bb.85:
	;; [unrolled: 6-line block ×3, first 2 shown]
	v_mov_b32_e32 v40, v1
	s_mov_b32 s3, exec_lo
	v_cmpx_eq_u32_e32 5, v54
; %bb.87:
	v_mul_u32_u24_e32 v40, 0x10001, v64
; %bb.88:
	s_or_b32 exec_lo, exec_lo, s3
.LBB2_89:
	s_and_not1_saveexec_b32 s2, s2
; %bb.90:
	v_and_b32_e32 v0, 0xff00ff, v1
	s_delay_alu instid0(VALU_DEP_1)
	v_mul_u32_u24_e32 v40, 0x101, v0
; %bb.91:
	s_or_b32 exec_lo, exec_lo, s2
.LBB2_92:
	s_and_not1_saveexec_b32 s1, s1
; %bb.93:
	v_and_b32_e32 v0, 0xf0f0f0f, v1
	s_delay_alu instid0(VALU_DEP_1)
	v_lshl_add_u32 v40, v0, 4, v0
; %bb.94:
	s_or_b32 exec_lo, exec_lo, s1
.LBB2_95:
	s_and_not1_saveexec_b32 s0, s0
	s_cbranch_execz .LBB2_103
; %bb.96:
	s_mov_b32 s1, exec_lo
                                        ; implicit-def: $vgpr40
	v_cmpx_lt_i32_e32 1, v54
	s_xor_b32 s1, exec_lo, s1
; %bb.97:
	v_and_b32_e32 v0, 0x33333333, v1
	s_delay_alu instid0(VALU_DEP_1)
	v_lshl_add_u32 v40, v0, 2, v0
; %bb.98:
	s_and_not1_saveexec_b32 s1, s1
	s_cbranch_execz .LBB2_102
; %bb.99:
	v_mov_b32_e32 v40, v1
	s_mov_b32 s2, exec_lo
	v_cmpx_eq_u32_e32 1, v54
; %bb.100:
	v_and_b32_e32 v0, 0x55555555, v1
	s_delay_alu instid0(VALU_DEP_1)
	v_lshl_add_u32 v40, v0, 1, v0
; %bb.101:
	s_or_b32 exec_lo, exec_lo, s2
.LBB2_102:
	s_delay_alu instid0(SALU_CYCLE_1)
	s_or_b32 exec_lo, exec_lo, s1
.LBB2_103:
	s_delay_alu instid0(SALU_CYCLE_1)
	s_or_b32 exec_lo, exec_lo, s0
	s_mov_b32 s0, 0
	s_mov_b32 s2, 0
	s_mov_b32 s1, exec_lo
                                        ; implicit-def: $vgpr56
	v_cmpx_lt_i32_e32 2, v54
	s_xor_b32 s1, exec_lo, s1
	s_cbranch_execz .LBB2_233
; %bb.104:
	s_mov_b32 s3, 0
	s_mov_b32 s2, exec_lo
                                        ; implicit-def: $vgpr56
	v_cmpx_lt_i32_e32 3, v54
	s_xor_b32 s2, exec_lo, s2
	s_cbranch_execz .LBB2_112
; %bb.105:
	s_mov_b32 s4, exec_lo
                                        ; implicit-def: $vgpr56
	v_cmpx_lt_i32_e32 4, v54
	s_xor_b32 s4, exec_lo, s4
	s_cbranch_execz .LBB2_109
; %bb.106:
	s_mov_b32 s3, -1
	s_mov_b32 s5, exec_lo
                                        ; implicit-def: $vgpr56
	v_cmpx_eq_u32_e32 5, v54
	s_cbranch_execz .LBB2_108
; %bb.107:
	v_mul_u32_u24_e32 v56, 0x10001, v55
	s_xor_b32 s3, exec_lo, -1
	scratch_store_b32 off, v56, s33 offset:100
.LBB2_108:
	s_or_b32 exec_lo, exec_lo, s5
	s_delay_alu instid0(SALU_CYCLE_1)
	s_and_b32 s3, s3, exec_lo
.LBB2_109:
	s_and_not1_saveexec_b32 s4, s4
	s_cbranch_execz .LBB2_111
; %bb.110:
	v_and_b32_e32 v0, 0xff00ff00, v1
	s_delay_alu instid0(VALU_DEP_1) | instskip(NEXT) | instid1(VALU_DEP_1)
	v_lshrrev_b32_e32 v2, 8, v0
	v_or_b32_e32 v56, v2, v0
	scratch_store_b32 off, v56, s33 offset:100
.LBB2_111:
	s_or_b32 exec_lo, exec_lo, s4
	s_delay_alu instid0(SALU_CYCLE_1)
	s_and_b32 s3, s3, exec_lo
.LBB2_112:
	s_and_not1_saveexec_b32 s2, s2
	s_cbranch_execz .LBB2_114
; %bb.113:
	v_and_b32_e32 v0, 0xf0f0f0f0, v1
	s_delay_alu instid0(VALU_DEP_1) | instskip(NEXT) | instid1(VALU_DEP_1)
	v_lshrrev_b32_e32 v2, 4, v0
	v_or_b32_e32 v56, v2, v0
	scratch_store_b32 off, v56, s33 offset:100
.LBB2_114:
	s_or_b32 exec_lo, exec_lo, s2
	s_delay_alu instid0(SALU_CYCLE_1)
	s_and_b32 s2, s3, exec_lo
	s_and_not1_saveexec_b32 s1, s1
	s_cbranch_execnz .LBB2_234
.LBB2_115:
	s_or_b32 exec_lo, exec_lo, s1
	s_and_saveexec_b32 s1, s2
	s_cbranch_execz .LBB2_239
.LBB2_116:
	v_add_nc_u32_e32 v0, -6, v54
	s_mov_b32 s2, 0
	s_mov_b32 s3, 0
	s_delay_alu instid0(VALU_DEP_1)
	v_lshlrev_b32_e64 v0, v0, 1
.LBB2_117:                              ; =>This Inner Loop Header: Depth=1
	s_add_i32 s4, s3, 1
	v_mov_b32_e32 v2, s3
	s_delay_alu instid0(VALU_DEP_2) | instskip(SKIP_2) | instid1(SALU_CYCLE_1)
	v_cmp_eq_u32_e32 vcc_lo, s4, v0
	s_mov_b32 s3, s4
	s_or_b32 s2, vcc_lo, s2
	s_and_not1_b32 exec_lo, exec_lo, s2
	s_cbranch_execnz .LBB2_117
; %bb.118:
	s_or_b32 exec_lo, exec_lo, s2
	v_lshlrev_b32_e32 v0, 2, v0
	v_lshlrev_b32_e32 v2, 2, v2
	s_add_i32 s2, s33, 0x64
	s_and_not1_b32 s0, s0, exec_lo
	s_delay_alu instid0(VALU_DEP_1)
	v_add3_u32 v0, s2, v0, v2
	scratch_load_b32 v56, v0, off
	s_waitcnt vmcnt(0)
	scratch_store_b32 off, v56, s33 offset:100
	s_or_b32 exec_lo, exec_lo, s1
	s_and_saveexec_b32 s1, s0
	s_cbranch_execnz .LBB2_240
	s_branch .LBB2_241
.LBB2_119:
	s_or_b32 exec_lo, exec_lo, s42
	s_and_saveexec_b32 s0, s40
	s_delay_alu instid0(SALU_CYCLE_1)
	s_xor_b32 s17, exec_lo, s0
	s_cbranch_execz .LBB2_121
.LBB2_120:
	s_getpc_b64 s[0:1]
	s_add_u32 s0, s0, .str.24@rel32@lo+4
	s_addc_u32 s1, s1, .str.24@rel32@hi+12
	s_getpc_b64 s[2:3]
	s_add_u32 s2, s2, .str.25@rel32@lo+4
	s_addc_u32 s3, s3, .str.25@rel32@hi+12
	s_getpc_b64 s[4:5]
	s_add_u32 s4, s4, __PRETTY_FUNCTION__._ZN9truthUtil12varInSupportEPKjii@rel32@lo+4
	s_addc_u32 s5, s5, __PRETTY_FUNCTION__._ZN9truthUtil12varInSupportEPKjii@rel32@hi+12
	v_dual_mov_b32 v0, s0 :: v_dual_mov_b32 v1, s1
	v_dual_mov_b32 v2, s2 :: v_dual_mov_b32 v3, s3
	;; [unrolled: 1-line block ×3, first 2 shown]
	v_mov_b32_e32 v6, s5
	s_mov_b64 s[8:9], s[34:35]
	s_getpc_b64 s[6:7]
	s_add_u32 s6, s6, __assert_fail@rel32@lo+4
	s_addc_u32 s7, s7, __assert_fail@rel32@hi+12
	s_delay_alu instid0(SALU_CYCLE_1)
	s_swappc_b64 s[30:31], s[6:7]
	s_or_b32 s41, s41, exec_lo
                                        ; implicit-def: $vgpr0
.LBB2_121:
	s_or_b32 exec_lo, exec_lo, s17
	s_delay_alu instid0(SALU_CYCLE_1)
	s_and_not1_b32 s0, s36, exec_lo
	s_and_b32 s1, s41, exec_lo
	s_and_b32 s18, s18, exec_lo
	s_or_b32 s17, s0, s1
                                        ; implicit-def: $vgpr44_vgpr45
.LBB2_122:
	s_and_not1_saveexec_b32 s19, s39
	s_cbranch_execz .LBB2_380
; %bb.123:
	v_dual_mov_b32 v0, 0 :: v_dual_mov_b32 v1, 1
	s_mov_b32 s20, s18
	s_mov_b32 s0, exec_lo
                                        ; implicit-def: $sgpr21
	flat_store_b64 v[41:42], v[0:1]
	flat_load_b32 v1, v[44:45]
	s_waitcnt vmcnt(0) lgkmcnt(0)
	v_cmpx_gt_i32_e32 0x2000, v1
	s_xor_b32 s0, exec_lo, s0
	s_cbranch_execz .LBB2_125
; %bb.124:
	v_ashrrev_i32_e32 v2, 31, v1
	s_mov_b32 s21, -1
	s_or_b32 s20, s18, exec_lo
	s_delay_alu instid0(VALU_DEP_1) | instskip(SKIP_1) | instid1(VALU_DEP_2)
	v_lshlrev_b64 v[2:3], 2, v[1:2]
	v_add_nc_u32_e32 v1, 1, v1
	v_add_co_u32 v2, vcc_lo, v44, v2
	s_delay_alu instid0(VALU_DEP_3) | instskip(NEXT) | instid1(VALU_DEP_2)
	v_add_co_ci_u32_e32 v3, vcc_lo, v45, v3, vcc_lo
	v_add_co_u32 v4, vcc_lo, v2, 4
	s_delay_alu instid0(VALU_DEP_2)
	v_add_co_ci_u32_e32 v5, vcc_lo, 0, v3, vcc_lo
	flat_store_b32 v[44:45], v1
	flat_store_b64 v[41:42], v[4:5] offset:8
	flat_store_b32 v[2:3], v0 offset:4
.LBB2_125:
	s_or_saveexec_b32 s22, s0
	s_mov_b32 s0, s17
	s_xor_b32 exec_lo, exec_lo, s22
	s_cbranch_execz .LBB2_379
; %bb.126:
	s_load_b64 s[2:3], s[34:35], 0x50
	v_mbcnt_lo_u32_b32 v29, -1, 0
	v_mov_b32_e32 v6, 0
	v_mov_b32_e32 v7, 0
	s_delay_alu instid0(VALU_DEP_3) | instskip(NEXT) | instid1(VALU_DEP_1)
	v_readfirstlane_b32 s0, v29
	v_cmp_eq_u32_e64 s0, s0, v29
	s_delay_alu instid0(VALU_DEP_1)
	s_and_saveexec_b32 s1, s0
	s_cbranch_execz .LBB2_132
; %bb.127:
	v_mov_b32_e32 v0, 0
	s_mov_b32 s4, exec_lo
	s_waitcnt lgkmcnt(0)
	global_load_b64 v[3:4], v0, s[2:3] offset:24 glc
	s_waitcnt vmcnt(0)
	buffer_gl1_inv
	buffer_gl0_inv
	s_clause 0x1
	global_load_b64 v[1:2], v0, s[2:3] offset:40
	global_load_b64 v[5:6], v0, s[2:3]
	s_waitcnt vmcnt(1)
	v_and_b32_e32 v1, v1, v3
	v_and_b32_e32 v2, v2, v4
	s_delay_alu instid0(VALU_DEP_2) | instskip(NEXT) | instid1(VALU_DEP_2)
	v_mul_hi_u32 v7, v1, 24
	v_mul_lo_u32 v2, v2, 24
	v_mul_lo_u32 v1, v1, 24
	s_delay_alu instid0(VALU_DEP_2) | instskip(SKIP_1) | instid1(VALU_DEP_2)
	v_add_nc_u32_e32 v2, v7, v2
	s_waitcnt vmcnt(0)
	v_add_co_u32 v1, vcc_lo, v5, v1
	s_delay_alu instid0(VALU_DEP_2)
	v_add_co_ci_u32_e32 v2, vcc_lo, v6, v2, vcc_lo
	global_load_b64 v[1:2], v[1:2], off glc
	s_waitcnt vmcnt(0)
	global_atomic_cmpswap_b64 v[6:7], v0, v[1:4], s[2:3] offset:24 glc
	s_waitcnt vmcnt(0)
	buffer_gl1_inv
	buffer_gl0_inv
	v_cmpx_ne_u64_e64 v[6:7], v[3:4]
	s_cbranch_execz .LBB2_131
; %bb.128:
	s_mov_b32 s5, 0
	.p2align	6
.LBB2_129:                              ; =>This Inner Loop Header: Depth=1
	s_sleep 1
	s_clause 0x1
	global_load_b64 v[1:2], v0, s[2:3] offset:40
	global_load_b64 v[8:9], v0, s[2:3]
	v_dual_mov_b32 v3, v6 :: v_dual_mov_b32 v4, v7
	s_waitcnt vmcnt(1)
	s_delay_alu instid0(VALU_DEP_1) | instskip(NEXT) | instid1(VALU_DEP_2)
	v_and_b32_e32 v1, v1, v3
	v_and_b32_e32 v2, v2, v4
	s_waitcnt vmcnt(0)
	s_delay_alu instid0(VALU_DEP_2) | instskip(NEXT) | instid1(VALU_DEP_1)
	v_mad_u64_u32 v[5:6], null, v1, 24, v[8:9]
	v_mov_b32_e32 v1, v6
	s_delay_alu instid0(VALU_DEP_1)
	v_mad_u64_u32 v[6:7], null, v2, 24, v[1:2]
	global_load_b64 v[1:2], v[5:6], off glc
	s_waitcnt vmcnt(0)
	global_atomic_cmpswap_b64 v[6:7], v0, v[1:4], s[2:3] offset:24 glc
	s_waitcnt vmcnt(0)
	buffer_gl1_inv
	buffer_gl0_inv
	v_cmp_eq_u64_e32 vcc_lo, v[6:7], v[3:4]
	s_or_b32 s5, vcc_lo, s5
	s_delay_alu instid0(SALU_CYCLE_1)
	s_and_not1_b32 exec_lo, exec_lo, s5
	s_cbranch_execnz .LBB2_129
; %bb.130:
	s_or_b32 exec_lo, exec_lo, s5
.LBB2_131:
	s_delay_alu instid0(SALU_CYCLE_1)
	s_or_b32 exec_lo, exec_lo, s4
.LBB2_132:
	s_delay_alu instid0(SALU_CYCLE_1)
	s_or_b32 exec_lo, exec_lo, s1
	v_mov_b32_e32 v5, 0
	v_readfirstlane_b32 s4, v6
	v_readfirstlane_b32 s5, v7
	s_mov_b32 s1, exec_lo
	s_waitcnt lgkmcnt(0)
	s_clause 0x1
	global_load_b64 v[8:9], v5, s[2:3] offset:40
	global_load_b128 v[0:3], v5, s[2:3]
	s_waitcnt vmcnt(1)
	v_readfirstlane_b32 s6, v8
	v_readfirstlane_b32 s7, v9
	s_delay_alu instid0(VALU_DEP_1) | instskip(NEXT) | instid1(SALU_CYCLE_1)
	s_and_b64 s[6:7], s[4:5], s[6:7]
	s_mul_i32 s8, s7, 24
	s_mul_hi_u32 s9, s6, 24
	s_mul_i32 s10, s6, 24
	s_add_i32 s9, s9, s8
	s_waitcnt vmcnt(0)
	v_add_co_u32 v8, vcc_lo, v0, s10
	v_add_co_ci_u32_e32 v9, vcc_lo, s9, v1, vcc_lo
	s_and_saveexec_b32 s8, s0
	s_cbranch_execz .LBB2_134
; %bb.133:
	v_dual_mov_b32 v4, s1 :: v_dual_mov_b32 v7, 1
	v_mov_b32_e32 v6, 2
	global_store_b128 v[8:9], v[4:7], off offset:8
.LBB2_134:
	s_or_b32 exec_lo, exec_lo, s8
	s_lshl_b64 s[6:7], s[6:7], 12
	v_dual_mov_b32 v7, v5 :: v_dual_lshlrev_b32 v28, 6, v29
	v_add_co_u32 v2, vcc_lo, v2, s6
	v_add_co_ci_u32_e32 v3, vcc_lo, s7, v3, vcc_lo
	s_mov_b32 s8, 0
	s_delay_alu instid0(VALU_DEP_2)
	v_add_co_u32 v10, vcc_lo, v2, v28
	s_mov_b32 s11, s8
	s_mov_b32 s9, s8
	;; [unrolled: 1-line block ×3, first 2 shown]
	v_dual_mov_b32 v4, 33 :: v_dual_mov_b32 v15, s11
	v_dual_mov_b32 v6, v5 :: v_dual_mov_b32 v13, s9
	v_readfirstlane_b32 s6, v2
	v_readfirstlane_b32 s7, v3
	v_add_co_ci_u32_e32 v11, vcc_lo, 0, v3, vcc_lo
	v_mov_b32_e32 v14, s10
	v_mov_b32_e32 v12, s8
	s_clause 0x3
	global_store_b128 v28, v[4:7], s[6:7]
	global_store_b128 v28, v[12:15], s[6:7] offset:16
	global_store_b128 v28, v[12:15], s[6:7] offset:32
	;; [unrolled: 1-line block ×3, first 2 shown]
	s_and_saveexec_b32 s1, s0
	s_cbranch_execz .LBB2_142
; %bb.135:
	v_mov_b32_e32 v6, 0
	s_mov_b32 s6, exec_lo
	s_clause 0x1
	global_load_b64 v[14:15], v6, s[2:3] offset:32 glc
	global_load_b64 v[2:3], v6, s[2:3] offset:40
	v_dual_mov_b32 v13, s5 :: v_dual_mov_b32 v12, s4
	s_waitcnt vmcnt(0)
	v_and_b32_e32 v3, s5, v3
	v_and_b32_e32 v2, s4, v2
	s_delay_alu instid0(VALU_DEP_2) | instskip(NEXT) | instid1(VALU_DEP_2)
	v_mul_lo_u32 v3, v3, 24
	v_mul_hi_u32 v4, v2, 24
	v_mul_lo_u32 v2, v2, 24
	s_delay_alu instid0(VALU_DEP_2) | instskip(NEXT) | instid1(VALU_DEP_2)
	v_add_nc_u32_e32 v3, v4, v3
	v_add_co_u32 v4, vcc_lo, v0, v2
	s_delay_alu instid0(VALU_DEP_2)
	v_add_co_ci_u32_e32 v5, vcc_lo, v1, v3, vcc_lo
	global_store_b64 v[4:5], v[14:15], off
	s_waitcnt_vscnt null, 0x0
	global_atomic_cmpswap_b64 v[2:3], v6, v[12:15], s[2:3] offset:32 glc
	s_waitcnt vmcnt(0)
	v_cmpx_ne_u64_e64 v[2:3], v[14:15]
	s_cbranch_execz .LBB2_138
; %bb.136:
	s_mov_b32 s7, 0
.LBB2_137:                              ; =>This Inner Loop Header: Depth=1
	v_dual_mov_b32 v0, s4 :: v_dual_mov_b32 v1, s5
	s_sleep 1
	global_store_b64 v[4:5], v[2:3], off
	s_waitcnt_vscnt null, 0x0
	global_atomic_cmpswap_b64 v[0:1], v6, v[0:3], s[2:3] offset:32 glc
	s_waitcnt vmcnt(0)
	v_cmp_eq_u64_e32 vcc_lo, v[0:1], v[2:3]
	v_dual_mov_b32 v3, v1 :: v_dual_mov_b32 v2, v0
	s_or_b32 s7, vcc_lo, s7
	s_delay_alu instid0(SALU_CYCLE_1)
	s_and_not1_b32 exec_lo, exec_lo, s7
	s_cbranch_execnz .LBB2_137
.LBB2_138:
	s_or_b32 exec_lo, exec_lo, s6
	v_mov_b32_e32 v3, 0
	s_mov_b32 s7, exec_lo
	s_mov_b32 s6, exec_lo
	v_mbcnt_lo_u32_b32 v2, s7, 0
	global_load_b64 v[0:1], v3, s[2:3] offset:16
	v_cmpx_eq_u32_e32 0, v2
	s_cbranch_execz .LBB2_140
; %bb.139:
	s_bcnt1_i32_b32 s7, s7
	s_delay_alu instid0(SALU_CYCLE_1)
	v_mov_b32_e32 v2, s7
	s_waitcnt vmcnt(0)
	global_atomic_add_u64 v[0:1], v[2:3], off offset:8
.LBB2_140:
	s_or_b32 exec_lo, exec_lo, s6
	s_waitcnt vmcnt(0)
	global_load_b64 v[2:3], v[0:1], off offset:16
	s_waitcnt vmcnt(0)
	v_cmp_eq_u64_e32 vcc_lo, 0, v[2:3]
	s_cbranch_vccnz .LBB2_142
; %bb.141:
	global_load_b32 v0, v[0:1], off offset:24
	s_waitcnt vmcnt(0)
	v_dual_mov_b32 v1, 0 :: v_dual_and_b32 v4, 0xffffff, v0
	s_waitcnt_vscnt null, 0x0
	global_store_b64 v[2:3], v[0:1], off
	v_readfirstlane_b32 m0, v4
	s_sendmsg sendmsg(MSG_INTERRUPT)
.LBB2_142:
	s_or_b32 exec_lo, exec_lo, s1
	s_branch .LBB2_144
	.p2align	6
.LBB2_143:
	s_branch .LBB2_148
.LBB2_144:                              ; =>This Inner Loop Header: Depth=1
	v_mov_b32_e32 v0, 1
	s_and_saveexec_b32 s1, s0
	s_cbranch_execz .LBB2_146
; %bb.145:                              ;   in Loop: Header=BB2_144 Depth=1
	global_load_b32 v0, v[8:9], off offset:20 glc
	s_waitcnt vmcnt(0)
	buffer_gl1_inv
	buffer_gl0_inv
	v_and_b32_e32 v0, 1, v0
.LBB2_146:                              ;   in Loop: Header=BB2_144 Depth=1
	s_or_b32 exec_lo, exec_lo, s1
	s_delay_alu instid0(VALU_DEP_1) | instskip(NEXT) | instid1(VALU_DEP_1)
	v_readfirstlane_b32 s1, v0
	s_cmp_eq_u32 s1, 0
	s_cbranch_scc1 .LBB2_143
; %bb.147:                              ;   in Loop: Header=BB2_144 Depth=1
	s_sleep 1
	s_cbranch_execnz .LBB2_144
.LBB2_148:
	global_load_b64 v[0:1], v[10:11], off
	s_and_saveexec_b32 s1, s0
	s_cbranch_execz .LBB2_152
; %bb.149:
	v_mov_b32_e32 v8, 0
	s_clause 0x2
	global_load_b64 v[4:5], v8, s[2:3] offset:40
	global_load_b64 v[9:10], v8, s[2:3] offset:24 glc
	global_load_b64 v[6:7], v8, s[2:3]
	s_waitcnt vmcnt(2)
	v_add_co_u32 v11, vcc_lo, v4, 1
	v_add_co_ci_u32_e32 v12, vcc_lo, 0, v5, vcc_lo
	s_delay_alu instid0(VALU_DEP_2) | instskip(NEXT) | instid1(VALU_DEP_2)
	v_add_co_u32 v2, vcc_lo, v11, s4
	v_add_co_ci_u32_e32 v3, vcc_lo, s5, v12, vcc_lo
	s_delay_alu instid0(VALU_DEP_1) | instskip(SKIP_1) | instid1(VALU_DEP_1)
	v_cmp_eq_u64_e32 vcc_lo, 0, v[2:3]
	v_dual_cndmask_b32 v3, v3, v12 :: v_dual_cndmask_b32 v2, v2, v11
	v_and_b32_e32 v5, v3, v5
	s_delay_alu instid0(VALU_DEP_2) | instskip(NEXT) | instid1(VALU_DEP_2)
	v_and_b32_e32 v4, v2, v4
	v_mul_lo_u32 v5, v5, 24
	s_delay_alu instid0(VALU_DEP_2) | instskip(SKIP_1) | instid1(VALU_DEP_2)
	v_mul_hi_u32 v11, v4, 24
	v_mul_lo_u32 v4, v4, 24
	v_add_nc_u32_e32 v5, v11, v5
	s_waitcnt vmcnt(0)
	s_delay_alu instid0(VALU_DEP_2) | instskip(SKIP_1) | instid1(VALU_DEP_3)
	v_add_co_u32 v6, vcc_lo, v6, v4
	v_mov_b32_e32 v4, v9
	v_add_co_ci_u32_e32 v7, vcc_lo, v7, v5, vcc_lo
	v_mov_b32_e32 v5, v10
	global_store_b64 v[6:7], v[9:10], off
	s_waitcnt_vscnt null, 0x0
	global_atomic_cmpswap_b64 v[4:5], v8, v[2:5], s[2:3] offset:24 glc
	s_waitcnt vmcnt(0)
	v_cmp_ne_u64_e32 vcc_lo, v[4:5], v[9:10]
	s_and_b32 exec_lo, exec_lo, vcc_lo
	s_cbranch_execz .LBB2_152
; %bb.150:
	s_mov_b32 s0, 0
.LBB2_151:                              ; =>This Inner Loop Header: Depth=1
	s_sleep 1
	global_store_b64 v[6:7], v[4:5], off
	s_waitcnt_vscnt null, 0x0
	global_atomic_cmpswap_b64 v[9:10], v8, v[2:5], s[2:3] offset:24 glc
	s_waitcnt vmcnt(0)
	v_cmp_eq_u64_e32 vcc_lo, v[9:10], v[4:5]
	v_dual_mov_b32 v4, v9 :: v_dual_mov_b32 v5, v10
	s_or_b32 s0, vcc_lo, s0
	s_delay_alu instid0(SALU_CYCLE_1)
	s_and_not1_b32 exec_lo, exec_lo, s0
	s_cbranch_execnz .LBB2_151
.LBB2_152:
	s_or_b32 exec_lo, exec_lo, s1
	s_getpc_b64 s[4:5]
	s_add_u32 s4, s4, .str.28@rel32@lo+4
	s_addc_u32 s5, s5, .str.28@rel32@hi+12
	s_delay_alu instid0(SALU_CYCLE_1)
	s_cmp_lg_u64 s[4:5], 0
	s_cbranch_scc0 .LBB2_350
; %bb.153:
	s_waitcnt vmcnt(0)
	v_dual_mov_b32 v7, v1 :: v_dual_and_b32 v6, -3, v0
	v_dual_mov_b32 v3, 0 :: v_dual_mov_b32 v4, 2
	v_mov_b32_e32 v5, 1
	s_mov_b64 s[6:7], 35
	s_branch .LBB2_155
.LBB2_154:                              ;   in Loop: Header=BB2_155 Depth=1
	s_or_b32 exec_lo, exec_lo, s1
	s_sub_u32 s6, s6, s8
	s_subb_u32 s7, s7, s9
	s_add_u32 s4, s4, s8
	s_addc_u32 s5, s5, s9
	s_cmp_lg_u64 s[6:7], 0
	s_cbranch_scc0 .LBB2_349
.LBB2_155:                              ; =>This Loop Header: Depth=1
                                        ;     Child Loop BB2_158 Depth 2
                                        ;     Child Loop BB2_163 Depth 2
	;; [unrolled: 1-line block ×11, first 2 shown]
	v_cmp_lt_u64_e64 s0, s[6:7], 56
	v_cmp_gt_u64_e64 s1, s[6:7], 7
                                        ; implicit-def: $sgpr14
	s_delay_alu instid0(VALU_DEP_2) | instskip(SKIP_2) | instid1(VALU_DEP_1)
	s_and_b32 s0, s0, exec_lo
	s_cselect_b32 s9, s7, 0
	s_cselect_b32 s8, s6, 56
	s_and_b32 vcc_lo, exec_lo, s1
	s_mov_b32 s0, -1
	s_cbranch_vccnz .LBB2_165
; %bb.156:                              ;   in Loop: Header=BB2_155 Depth=1
	s_waitcnt vmcnt(0)
	v_mov_b32_e32 v8, 0
	v_mov_b32_e32 v9, 0
	s_cmp_eq_u64 s[6:7], 0
	s_mov_b64 s[0:1], 0
	s_cbranch_scc1 .LBB2_159
; %bb.157:                              ;   in Loop: Header=BB2_155 Depth=1
	v_mov_b32_e32 v8, 0
	v_mov_b32_e32 v9, 0
	s_lshl_b64 s[10:11], s[8:9], 3
	s_mov_b64 s[12:13], s[4:5]
.LBB2_158:                              ;   Parent Loop BB2_155 Depth=1
                                        ; =>  This Inner Loop Header: Depth=2
	global_load_u8 v2, v3, s[12:13]
	s_waitcnt vmcnt(0)
	v_and_b32_e32 v2, 0xffff, v2
	s_delay_alu instid0(VALU_DEP_1)
	v_lshlrev_b64 v[10:11], s0, v[2:3]
	s_add_u32 s0, s0, 8
	s_addc_u32 s1, s1, 0
	s_add_u32 s12, s12, 1
	s_addc_u32 s13, s13, 0
	s_cmp_lg_u32 s10, s0
	v_or_b32_e32 v8, v10, v8
	v_or_b32_e32 v9, v11, v9
	s_cbranch_scc1 .LBB2_158
.LBB2_159:                              ;   in Loop: Header=BB2_155 Depth=1
	s_mov_b32 s14, 0
	s_mov_b64 s[0:1], s[4:5]
	s_cbranch_execz .LBB2_166
.LBB2_160:                              ;   in Loop: Header=BB2_155 Depth=1
	s_cmp_gt_u32 s14, 7
	s_cbranch_scc1 .LBB2_167
.LBB2_161:                              ;   in Loop: Header=BB2_155 Depth=1
	v_mov_b32_e32 v10, 0
	v_mov_b32_e32 v11, 0
	s_cmp_eq_u32 s14, 0
	s_cbranch_scc1 .LBB2_164
; %bb.162:                              ;   in Loop: Header=BB2_155 Depth=1
	s_mov_b64 s[10:11], 0
	s_mov_b64 s[12:13], 0
.LBB2_163:                              ;   Parent Loop BB2_155 Depth=1
                                        ; =>  This Inner Loop Header: Depth=2
	s_delay_alu instid0(SALU_CYCLE_1)
	s_add_u32 s24, s0, s12
	s_addc_u32 s25, s1, s13
	s_add_u32 s12, s12, 1
	global_load_u8 v2, v3, s[24:25]
	s_addc_u32 s13, s13, 0
	s_waitcnt vmcnt(0)
	v_and_b32_e32 v2, 0xffff, v2
	s_delay_alu instid0(VALU_DEP_1) | instskip(SKIP_3) | instid1(VALU_DEP_1)
	v_lshlrev_b64 v[12:13], s10, v[2:3]
	s_add_u32 s10, s10, 8
	s_addc_u32 s11, s11, 0
	s_cmp_lg_u32 s14, s12
	v_or_b32_e32 v10, v12, v10
	s_delay_alu instid0(VALU_DEP_2)
	v_or_b32_e32 v11, v13, v11
	s_cbranch_scc1 .LBB2_163
.LBB2_164:                              ;   in Loop: Header=BB2_155 Depth=1
	s_mov_b32 s15, 0
	s_cbranch_execz .LBB2_168
	s_branch .LBB2_169
.LBB2_165:                              ;   in Loop: Header=BB2_155 Depth=1
	s_and_not1_b32 vcc_lo, exec_lo, s0
	s_mov_b64 s[0:1], s[4:5]
	s_cbranch_vccnz .LBB2_160
.LBB2_166:                              ;   in Loop: Header=BB2_155 Depth=1
	global_load_b64 v[8:9], v3, s[4:5]
	s_add_i32 s14, s8, -8
	s_add_u32 s0, s4, 8
	s_addc_u32 s1, s5, 0
	s_cmp_gt_u32 s14, 7
	s_cbranch_scc0 .LBB2_161
.LBB2_167:                              ;   in Loop: Header=BB2_155 Depth=1
                                        ; implicit-def: $vgpr10_vgpr11
                                        ; implicit-def: $sgpr15
.LBB2_168:                              ;   in Loop: Header=BB2_155 Depth=1
	global_load_b64 v[10:11], v3, s[0:1]
	s_add_i32 s15, s14, -8
	s_add_u32 s0, s0, 8
	s_addc_u32 s1, s1, 0
.LBB2_169:                              ;   in Loop: Header=BB2_155 Depth=1
	s_cmp_gt_u32 s15, 7
	s_cbranch_scc1 .LBB2_174
; %bb.170:                              ;   in Loop: Header=BB2_155 Depth=1
	v_mov_b32_e32 v12, 0
	v_mov_b32_e32 v13, 0
	s_cmp_eq_u32 s15, 0
	s_cbranch_scc1 .LBB2_173
; %bb.171:                              ;   in Loop: Header=BB2_155 Depth=1
	s_mov_b64 s[10:11], 0
	s_mov_b64 s[12:13], 0
.LBB2_172:                              ;   Parent Loop BB2_155 Depth=1
                                        ; =>  This Inner Loop Header: Depth=2
	s_delay_alu instid0(SALU_CYCLE_1)
	s_add_u32 s24, s0, s12
	s_addc_u32 s25, s1, s13
	s_add_u32 s12, s12, 1
	global_load_u8 v2, v3, s[24:25]
	s_addc_u32 s13, s13, 0
	s_waitcnt vmcnt(0)
	v_and_b32_e32 v2, 0xffff, v2
	s_delay_alu instid0(VALU_DEP_1) | instskip(SKIP_3) | instid1(VALU_DEP_1)
	v_lshlrev_b64 v[14:15], s10, v[2:3]
	s_add_u32 s10, s10, 8
	s_addc_u32 s11, s11, 0
	s_cmp_lg_u32 s15, s12
	v_or_b32_e32 v12, v14, v12
	s_delay_alu instid0(VALU_DEP_2)
	v_or_b32_e32 v13, v15, v13
	s_cbranch_scc1 .LBB2_172
.LBB2_173:                              ;   in Loop: Header=BB2_155 Depth=1
	s_mov_b32 s14, 0
	s_cbranch_execz .LBB2_175
	s_branch .LBB2_176
.LBB2_174:                              ;   in Loop: Header=BB2_155 Depth=1
                                        ; implicit-def: $sgpr14
.LBB2_175:                              ;   in Loop: Header=BB2_155 Depth=1
	global_load_b64 v[12:13], v3, s[0:1]
	s_add_i32 s14, s15, -8
	s_add_u32 s0, s0, 8
	s_addc_u32 s1, s1, 0
.LBB2_176:                              ;   in Loop: Header=BB2_155 Depth=1
	s_cmp_gt_u32 s14, 7
	s_cbranch_scc1 .LBB2_181
; %bb.177:                              ;   in Loop: Header=BB2_155 Depth=1
	v_mov_b32_e32 v14, 0
	v_mov_b32_e32 v15, 0
	s_cmp_eq_u32 s14, 0
	s_cbranch_scc1 .LBB2_180
; %bb.178:                              ;   in Loop: Header=BB2_155 Depth=1
	s_mov_b64 s[10:11], 0
	s_mov_b64 s[12:13], 0
.LBB2_179:                              ;   Parent Loop BB2_155 Depth=1
                                        ; =>  This Inner Loop Header: Depth=2
	s_delay_alu instid0(SALU_CYCLE_1)
	s_add_u32 s24, s0, s12
	s_addc_u32 s25, s1, s13
	s_add_u32 s12, s12, 1
	global_load_u8 v2, v3, s[24:25]
	s_addc_u32 s13, s13, 0
	s_waitcnt vmcnt(0)
	v_and_b32_e32 v2, 0xffff, v2
	s_delay_alu instid0(VALU_DEP_1) | instskip(SKIP_3) | instid1(VALU_DEP_1)
	v_lshlrev_b64 v[16:17], s10, v[2:3]
	s_add_u32 s10, s10, 8
	s_addc_u32 s11, s11, 0
	s_cmp_lg_u32 s14, s12
	v_or_b32_e32 v14, v16, v14
	s_delay_alu instid0(VALU_DEP_2)
	v_or_b32_e32 v15, v17, v15
	s_cbranch_scc1 .LBB2_179
.LBB2_180:                              ;   in Loop: Header=BB2_155 Depth=1
	s_mov_b32 s15, 0
	s_cbranch_execz .LBB2_182
	s_branch .LBB2_183
.LBB2_181:                              ;   in Loop: Header=BB2_155 Depth=1
                                        ; implicit-def: $vgpr14_vgpr15
                                        ; implicit-def: $sgpr15
.LBB2_182:                              ;   in Loop: Header=BB2_155 Depth=1
	global_load_b64 v[14:15], v3, s[0:1]
	s_add_i32 s15, s14, -8
	s_add_u32 s0, s0, 8
	s_addc_u32 s1, s1, 0
.LBB2_183:                              ;   in Loop: Header=BB2_155 Depth=1
	s_cmp_gt_u32 s15, 7
	s_cbranch_scc1 .LBB2_188
; %bb.184:                              ;   in Loop: Header=BB2_155 Depth=1
	v_mov_b32_e32 v16, 0
	v_mov_b32_e32 v17, 0
	s_cmp_eq_u32 s15, 0
	s_cbranch_scc1 .LBB2_187
; %bb.185:                              ;   in Loop: Header=BB2_155 Depth=1
	s_mov_b64 s[10:11], 0
	s_mov_b64 s[12:13], 0
.LBB2_186:                              ;   Parent Loop BB2_155 Depth=1
                                        ; =>  This Inner Loop Header: Depth=2
	s_delay_alu instid0(SALU_CYCLE_1)
	s_add_u32 s24, s0, s12
	s_addc_u32 s25, s1, s13
	s_add_u32 s12, s12, 1
	global_load_u8 v2, v3, s[24:25]
	s_addc_u32 s13, s13, 0
	s_waitcnt vmcnt(0)
	v_and_b32_e32 v2, 0xffff, v2
	s_delay_alu instid0(VALU_DEP_1) | instskip(SKIP_3) | instid1(VALU_DEP_1)
	v_lshlrev_b64 v[18:19], s10, v[2:3]
	s_add_u32 s10, s10, 8
	s_addc_u32 s11, s11, 0
	s_cmp_lg_u32 s15, s12
	v_or_b32_e32 v16, v18, v16
	s_delay_alu instid0(VALU_DEP_2)
	v_or_b32_e32 v17, v19, v17
	s_cbranch_scc1 .LBB2_186
.LBB2_187:                              ;   in Loop: Header=BB2_155 Depth=1
	s_mov_b32 s14, 0
	s_cbranch_execz .LBB2_189
	s_branch .LBB2_190
.LBB2_188:                              ;   in Loop: Header=BB2_155 Depth=1
                                        ; implicit-def: $sgpr14
.LBB2_189:                              ;   in Loop: Header=BB2_155 Depth=1
	global_load_b64 v[16:17], v3, s[0:1]
	s_add_i32 s14, s15, -8
	s_add_u32 s0, s0, 8
	s_addc_u32 s1, s1, 0
.LBB2_190:                              ;   in Loop: Header=BB2_155 Depth=1
	s_cmp_gt_u32 s14, 7
	s_cbranch_scc1 .LBB2_195
; %bb.191:                              ;   in Loop: Header=BB2_155 Depth=1
	v_mov_b32_e32 v18, 0
	v_mov_b32_e32 v19, 0
	s_cmp_eq_u32 s14, 0
	s_cbranch_scc1 .LBB2_194
; %bb.192:                              ;   in Loop: Header=BB2_155 Depth=1
	s_mov_b64 s[10:11], 0
	s_mov_b64 s[12:13], 0
.LBB2_193:                              ;   Parent Loop BB2_155 Depth=1
                                        ; =>  This Inner Loop Header: Depth=2
	s_delay_alu instid0(SALU_CYCLE_1)
	s_add_u32 s24, s0, s12
	s_addc_u32 s25, s1, s13
	s_add_u32 s12, s12, 1
	global_load_u8 v2, v3, s[24:25]
	s_addc_u32 s13, s13, 0
	s_waitcnt vmcnt(0)
	v_and_b32_e32 v2, 0xffff, v2
	s_delay_alu instid0(VALU_DEP_1) | instskip(SKIP_3) | instid1(VALU_DEP_1)
	v_lshlrev_b64 v[20:21], s10, v[2:3]
	s_add_u32 s10, s10, 8
	s_addc_u32 s11, s11, 0
	s_cmp_lg_u32 s14, s12
	v_or_b32_e32 v18, v20, v18
	s_delay_alu instid0(VALU_DEP_2)
	v_or_b32_e32 v19, v21, v19
	s_cbranch_scc1 .LBB2_193
.LBB2_194:                              ;   in Loop: Header=BB2_155 Depth=1
	s_mov_b32 s15, 0
	s_cbranch_execz .LBB2_196
	s_branch .LBB2_197
.LBB2_195:                              ;   in Loop: Header=BB2_155 Depth=1
                                        ; implicit-def: $vgpr18_vgpr19
                                        ; implicit-def: $sgpr15
.LBB2_196:                              ;   in Loop: Header=BB2_155 Depth=1
	global_load_b64 v[18:19], v3, s[0:1]
	s_add_i32 s15, s14, -8
	s_add_u32 s0, s0, 8
	s_addc_u32 s1, s1, 0
.LBB2_197:                              ;   in Loop: Header=BB2_155 Depth=1
	s_cmp_gt_u32 s15, 7
	s_cbranch_scc1 .LBB2_202
; %bb.198:                              ;   in Loop: Header=BB2_155 Depth=1
	v_mov_b32_e32 v20, 0
	v_mov_b32_e32 v21, 0
	s_cmp_eq_u32 s15, 0
	s_cbranch_scc1 .LBB2_201
; %bb.199:                              ;   in Loop: Header=BB2_155 Depth=1
	s_mov_b64 s[10:11], 0
	s_mov_b64 s[12:13], s[0:1]
.LBB2_200:                              ;   Parent Loop BB2_155 Depth=1
                                        ; =>  This Inner Loop Header: Depth=2
	global_load_u8 v2, v3, s[12:13]
	s_add_i32 s15, s15, -1
	s_waitcnt vmcnt(0)
	v_and_b32_e32 v2, 0xffff, v2
	s_delay_alu instid0(VALU_DEP_1)
	v_lshlrev_b64 v[22:23], s10, v[2:3]
	s_add_u32 s10, s10, 8
	s_addc_u32 s11, s11, 0
	s_add_u32 s12, s12, 1
	s_addc_u32 s13, s13, 0
	s_cmp_lg_u32 s15, 0
	v_or_b32_e32 v20, v22, v20
	v_or_b32_e32 v21, v23, v21
	s_cbranch_scc1 .LBB2_200
.LBB2_201:                              ;   in Loop: Header=BB2_155 Depth=1
	s_cbranch_execz .LBB2_203
	s_branch .LBB2_204
.LBB2_202:                              ;   in Loop: Header=BB2_155 Depth=1
.LBB2_203:                              ;   in Loop: Header=BB2_155 Depth=1
	global_load_b64 v[20:21], v3, s[0:1]
.LBB2_204:                              ;   in Loop: Header=BB2_155 Depth=1
	v_readfirstlane_b32 s0, v29
	v_mov_b32_e32 v26, 0
	v_mov_b32_e32 v27, 0
	s_delay_alu instid0(VALU_DEP_3) | instskip(NEXT) | instid1(VALU_DEP_1)
	v_cmp_eq_u32_e64 s0, s0, v29
	s_and_saveexec_b32 s1, s0
	s_cbranch_execz .LBB2_210
; %bb.205:                              ;   in Loop: Header=BB2_155 Depth=1
	global_load_b64 v[24:25], v3, s[2:3] offset:24 glc
	s_waitcnt vmcnt(0)
	buffer_gl1_inv
	buffer_gl0_inv
	s_clause 0x1
	global_load_b64 v[22:23], v3, s[2:3] offset:40
	global_load_b64 v[26:27], v3, s[2:3]
	s_mov_b32 s10, exec_lo
	s_waitcnt vmcnt(1)
	v_and_b32_e32 v2, v23, v25
	v_and_b32_e32 v22, v22, v24
	s_delay_alu instid0(VALU_DEP_2) | instskip(NEXT) | instid1(VALU_DEP_2)
	v_mul_lo_u32 v2, v2, 24
	v_mul_hi_u32 v23, v22, 24
	v_mul_lo_u32 v22, v22, 24
	s_delay_alu instid0(VALU_DEP_2) | instskip(SKIP_1) | instid1(VALU_DEP_2)
	v_add_nc_u32_e32 v2, v23, v2
	s_waitcnt vmcnt(0)
	v_add_co_u32 v22, vcc_lo, v26, v22
	s_delay_alu instid0(VALU_DEP_2)
	v_add_co_ci_u32_e32 v23, vcc_lo, v27, v2, vcc_lo
	global_load_b64 v[22:23], v[22:23], off glc
	s_waitcnt vmcnt(0)
	global_atomic_cmpswap_b64 v[26:27], v3, v[22:25], s[2:3] offset:24 glc
	s_waitcnt vmcnt(0)
	buffer_gl1_inv
	buffer_gl0_inv
	v_cmpx_ne_u64_e64 v[26:27], v[24:25]
	s_cbranch_execz .LBB2_209
; %bb.206:                              ;   in Loop: Header=BB2_155 Depth=1
	s_mov_b32 s11, 0
	.p2align	6
.LBB2_207:                              ;   Parent Loop BB2_155 Depth=1
                                        ; =>  This Inner Loop Header: Depth=2
	s_sleep 1
	s_clause 0x1
	global_load_b64 v[22:23], v3, s[2:3] offset:40
	global_load_b64 v[30:31], v3, s[2:3]
	v_dual_mov_b32 v24, v26 :: v_dual_mov_b32 v25, v27
	s_waitcnt vmcnt(1)
	s_delay_alu instid0(VALU_DEP_1) | instskip(SKIP_1) | instid1(VALU_DEP_1)
	v_and_b32_e32 v2, v22, v24
	s_waitcnt vmcnt(0)
	v_mad_u64_u32 v[26:27], null, v2, 24, v[30:31]
	v_and_b32_e32 v30, v23, v25
	s_delay_alu instid0(VALU_DEP_2) | instskip(NEXT) | instid1(VALU_DEP_1)
	v_mov_b32_e32 v2, v27
	v_mad_u64_u32 v[22:23], null, v30, 24, v[2:3]
	s_delay_alu instid0(VALU_DEP_1)
	v_mov_b32_e32 v27, v22
	global_load_b64 v[22:23], v[26:27], off glc
	s_waitcnt vmcnt(0)
	global_atomic_cmpswap_b64 v[26:27], v3, v[22:25], s[2:3] offset:24 glc
	s_waitcnt vmcnt(0)
	buffer_gl1_inv
	buffer_gl0_inv
	v_cmp_eq_u64_e32 vcc_lo, v[26:27], v[24:25]
	s_or_b32 s11, vcc_lo, s11
	s_delay_alu instid0(SALU_CYCLE_1)
	s_and_not1_b32 exec_lo, exec_lo, s11
	s_cbranch_execnz .LBB2_207
; %bb.208:                              ;   in Loop: Header=BB2_155 Depth=1
	s_or_b32 exec_lo, exec_lo, s11
.LBB2_209:                              ;   in Loop: Header=BB2_155 Depth=1
	s_delay_alu instid0(SALU_CYCLE_1)
	s_or_b32 exec_lo, exec_lo, s10
.LBB2_210:                              ;   in Loop: Header=BB2_155 Depth=1
	s_delay_alu instid0(SALU_CYCLE_1)
	s_or_b32 exec_lo, exec_lo, s1
	s_clause 0x1
	global_load_b64 v[30:31], v3, s[2:3] offset:40
	global_load_b128 v[22:25], v3, s[2:3]
	v_readfirstlane_b32 s10, v26
	v_readfirstlane_b32 s11, v27
	s_mov_b32 s1, exec_lo
	s_waitcnt vmcnt(1)
	v_readfirstlane_b32 s12, v30
	v_readfirstlane_b32 s13, v31
	s_delay_alu instid0(VALU_DEP_1) | instskip(NEXT) | instid1(SALU_CYCLE_1)
	s_and_b64 s[12:13], s[10:11], s[12:13]
	s_mul_i32 s14, s13, 24
	s_mul_hi_u32 s15, s12, 24
	s_mul_i32 s16, s12, 24
	s_add_i32 s15, s15, s14
	s_waitcnt vmcnt(0)
	v_add_co_u32 v26, vcc_lo, v22, s16
	v_add_co_ci_u32_e32 v27, vcc_lo, s15, v23, vcc_lo
	s_and_saveexec_b32 s14, s0
	s_cbranch_execz .LBB2_212
; %bb.211:                              ;   in Loop: Header=BB2_155 Depth=1
	v_mov_b32_e32 v2, s1
	global_store_b128 v[26:27], v[2:5], off offset:8
.LBB2_212:                              ;   in Loop: Header=BB2_155 Depth=1
	s_or_b32 exec_lo, exec_lo, s14
	s_lshl_b64 s[12:13], s[12:13], 12
	v_or_b32_e32 v2, 2, v6
	v_add_co_u32 v24, vcc_lo, v24, s12
	v_add_co_ci_u32_e32 v25, vcc_lo, s13, v25, vcc_lo
	v_cmp_gt_u64_e64 vcc_lo, s[6:7], 56
	s_lshl_b32 s1, s8, 2
	s_delay_alu instid0(VALU_DEP_3) | instskip(SKIP_4) | instid1(VALU_DEP_1)
	v_readfirstlane_b32 s12, v24
	s_add_i32 s1, s1, 28
	v_readfirstlane_b32 s13, v25
	s_and_b32 s1, s1, 0x1e0
	v_cndmask_b32_e32 v2, v2, v6, vcc_lo
	v_and_or_b32 v6, 0xffffff1f, v2, s1
	s_clause 0x3
	global_store_b128 v28, v[6:9], s[12:13]
	global_store_b128 v28, v[10:13], s[12:13] offset:16
	global_store_b128 v28, v[14:17], s[12:13] offset:32
	;; [unrolled: 1-line block ×3, first 2 shown]
	s_and_saveexec_b32 s1, s0
	s_cbranch_execz .LBB2_220
; %bb.213:                              ;   in Loop: Header=BB2_155 Depth=1
	s_clause 0x1
	global_load_b64 v[14:15], v3, s[2:3] offset:32 glc
	global_load_b64 v[6:7], v3, s[2:3] offset:40
	v_dual_mov_b32 v12, s10 :: v_dual_mov_b32 v13, s11
	s_waitcnt vmcnt(0)
	v_readfirstlane_b32 s12, v6
	v_readfirstlane_b32 s13, v7
	s_delay_alu instid0(VALU_DEP_1) | instskip(NEXT) | instid1(SALU_CYCLE_1)
	s_and_b64 s[12:13], s[12:13], s[10:11]
	s_mul_i32 s13, s13, 24
	s_mul_hi_u32 s14, s12, 24
	s_mul_i32 s12, s12, 24
	s_add_i32 s14, s14, s13
	v_add_co_u32 v10, vcc_lo, v22, s12
	v_add_co_ci_u32_e32 v11, vcc_lo, s14, v23, vcc_lo
	s_mov_b32 s12, exec_lo
	global_store_b64 v[10:11], v[14:15], off
	s_waitcnt_vscnt null, 0x0
	global_atomic_cmpswap_b64 v[8:9], v3, v[12:15], s[2:3] offset:32 glc
	s_waitcnt vmcnt(0)
	v_cmpx_ne_u64_e64 v[8:9], v[14:15]
	s_cbranch_execz .LBB2_216
; %bb.214:                              ;   in Loop: Header=BB2_155 Depth=1
	s_mov_b32 s13, 0
.LBB2_215:                              ;   Parent Loop BB2_155 Depth=1
                                        ; =>  This Inner Loop Header: Depth=2
	v_dual_mov_b32 v6, s10 :: v_dual_mov_b32 v7, s11
	s_sleep 1
	global_store_b64 v[10:11], v[8:9], off
	s_waitcnt_vscnt null, 0x0
	global_atomic_cmpswap_b64 v[6:7], v3, v[6:9], s[2:3] offset:32 glc
	s_waitcnt vmcnt(0)
	v_cmp_eq_u64_e32 vcc_lo, v[6:7], v[8:9]
	v_dual_mov_b32 v9, v7 :: v_dual_mov_b32 v8, v6
	s_or_b32 s13, vcc_lo, s13
	s_delay_alu instid0(SALU_CYCLE_1)
	s_and_not1_b32 exec_lo, exec_lo, s13
	s_cbranch_execnz .LBB2_215
.LBB2_216:                              ;   in Loop: Header=BB2_155 Depth=1
	s_or_b32 exec_lo, exec_lo, s12
	global_load_b64 v[6:7], v3, s[2:3] offset:16
	s_mov_b32 s13, exec_lo
	s_mov_b32 s12, exec_lo
	v_mbcnt_lo_u32_b32 v2, s13, 0
	s_delay_alu instid0(VALU_DEP_1)
	v_cmpx_eq_u32_e32 0, v2
	s_cbranch_execz .LBB2_218
; %bb.217:                              ;   in Loop: Header=BB2_155 Depth=1
	s_bcnt1_i32_b32 s13, s13
	s_delay_alu instid0(SALU_CYCLE_1)
	v_mov_b32_e32 v2, s13
	s_waitcnt vmcnt(0)
	global_atomic_add_u64 v[6:7], v[2:3], off offset:8
.LBB2_218:                              ;   in Loop: Header=BB2_155 Depth=1
	s_or_b32 exec_lo, exec_lo, s12
	s_waitcnt vmcnt(0)
	global_load_b64 v[8:9], v[6:7], off offset:16
	s_waitcnt vmcnt(0)
	v_cmp_eq_u64_e32 vcc_lo, 0, v[8:9]
	s_cbranch_vccnz .LBB2_220
; %bb.219:                              ;   in Loop: Header=BB2_155 Depth=1
	global_load_b32 v2, v[6:7], off offset:24
	s_waitcnt vmcnt(0)
	v_and_b32_e32 v6, 0xffffff, v2
	s_waitcnt_vscnt null, 0x0
	global_store_b64 v[8:9], v[2:3], off
	v_readfirstlane_b32 m0, v6
	s_sendmsg sendmsg(MSG_INTERRUPT)
.LBB2_220:                              ;   in Loop: Header=BB2_155 Depth=1
	s_or_b32 exec_lo, exec_lo, s1
	v_add_co_u32 v6, vcc_lo, v24, v28
	v_add_co_ci_u32_e32 v7, vcc_lo, 0, v25, vcc_lo
	s_branch .LBB2_222
	.p2align	6
.LBB2_221:                              ;   in Loop: Header=BB2_155 Depth=1
	s_branch .LBB2_226
.LBB2_222:                              ;   Parent Loop BB2_155 Depth=1
                                        ; =>  This Inner Loop Header: Depth=2
	v_mov_b32_e32 v2, 1
	s_and_saveexec_b32 s1, s0
	s_cbranch_execz .LBB2_224
; %bb.223:                              ;   in Loop: Header=BB2_222 Depth=2
	global_load_b32 v2, v[26:27], off offset:20 glc
	s_waitcnt vmcnt(0)
	buffer_gl1_inv
	buffer_gl0_inv
	v_and_b32_e32 v2, 1, v2
.LBB2_224:                              ;   in Loop: Header=BB2_222 Depth=2
	s_or_b32 exec_lo, exec_lo, s1
	s_delay_alu instid0(VALU_DEP_1) | instskip(NEXT) | instid1(VALU_DEP_1)
	v_readfirstlane_b32 s1, v2
	s_cmp_eq_u32 s1, 0
	s_cbranch_scc1 .LBB2_221
; %bb.225:                              ;   in Loop: Header=BB2_222 Depth=2
	s_sleep 1
	s_cbranch_execnz .LBB2_222
.LBB2_226:                              ;   in Loop: Header=BB2_155 Depth=1
	global_load_b128 v[6:9], v[6:7], off
	s_and_saveexec_b32 s1, s0
	s_cbranch_execz .LBB2_154
; %bb.227:                              ;   in Loop: Header=BB2_155 Depth=1
	s_clause 0x2
	global_load_b64 v[10:11], v3, s[2:3] offset:40
	global_load_b64 v[14:15], v3, s[2:3] offset:24 glc
	global_load_b64 v[12:13], v3, s[2:3]
	s_waitcnt vmcnt(2)
	v_add_co_u32 v2, vcc_lo, v10, 1
	v_add_co_ci_u32_e32 v16, vcc_lo, 0, v11, vcc_lo
	s_delay_alu instid0(VALU_DEP_2) | instskip(NEXT) | instid1(VALU_DEP_2)
	v_add_co_u32 v8, vcc_lo, v2, s10
	v_add_co_ci_u32_e32 v9, vcc_lo, s11, v16, vcc_lo
	s_delay_alu instid0(VALU_DEP_1) | instskip(SKIP_1) | instid1(VALU_DEP_1)
	v_cmp_eq_u64_e32 vcc_lo, 0, v[8:9]
	v_dual_cndmask_b32 v9, v9, v16 :: v_dual_cndmask_b32 v8, v8, v2
	v_and_b32_e32 v2, v9, v11
	s_delay_alu instid0(VALU_DEP_2) | instskip(NEXT) | instid1(VALU_DEP_2)
	v_and_b32_e32 v10, v8, v10
	v_mul_lo_u32 v2, v2, 24
	s_delay_alu instid0(VALU_DEP_2) | instskip(SKIP_1) | instid1(VALU_DEP_2)
	v_mul_hi_u32 v11, v10, 24
	v_mul_lo_u32 v10, v10, 24
	v_add_nc_u32_e32 v2, v11, v2
	s_waitcnt vmcnt(1)
	v_mov_b32_e32 v11, v15
	s_waitcnt vmcnt(0)
	s_delay_alu instid0(VALU_DEP_3)
	v_add_co_u32 v12, vcc_lo, v12, v10
	v_mov_b32_e32 v10, v14
	v_add_co_ci_u32_e32 v13, vcc_lo, v13, v2, vcc_lo
	global_store_b64 v[12:13], v[14:15], off
	s_waitcnt_vscnt null, 0x0
	global_atomic_cmpswap_b64 v[10:11], v3, v[8:11], s[2:3] offset:24 glc
	s_waitcnt vmcnt(0)
	v_cmp_ne_u64_e32 vcc_lo, v[10:11], v[14:15]
	s_and_b32 exec_lo, exec_lo, vcc_lo
	s_cbranch_execz .LBB2_154
; %bb.228:                              ;   in Loop: Header=BB2_155 Depth=1
	s_mov_b32 s0, 0
.LBB2_229:                              ;   Parent Loop BB2_155 Depth=1
                                        ; =>  This Inner Loop Header: Depth=2
	s_sleep 1
	global_store_b64 v[12:13], v[10:11], off
	s_waitcnt_vscnt null, 0x0
	global_atomic_cmpswap_b64 v[14:15], v3, v[8:11], s[2:3] offset:24 glc
	s_waitcnt vmcnt(0)
	v_cmp_eq_u64_e32 vcc_lo, v[14:15], v[10:11]
	v_dual_mov_b32 v10, v14 :: v_dual_mov_b32 v11, v15
	s_or_b32 s0, vcc_lo, s0
	s_delay_alu instid0(SALU_CYCLE_1)
	s_and_not1_b32 exec_lo, exec_lo, s0
	s_cbranch_execnz .LBB2_229
	s_branch .LBB2_154
.LBB2_230:
	s_or_b32 exec_lo, exec_lo, s14
	s_mov_b32 s0, 0
	s_mov_b32 s2, -1
	s_mov_b32 s1, 0
	s_and_saveexec_b32 s3, s13
	s_delay_alu instid0(SALU_CYCLE_1)
	s_xor_b32 s3, exec_lo, s3
; %bb.231:
	s_mov_b32 s1, exec_lo
	s_xor_b32 s2, exec_lo, -1
	s_and_b32 s0, s12, exec_lo
; %bb.232:
	s_or_b32 exec_lo, exec_lo, s3
	s_delay_alu instid0(SALU_CYCLE_1)
	s_and_b32 s40, s2, exec_lo
	s_and_b32 s17, s1, exec_lo
	s_or_not1_b32 s0, s0, exec_lo
	s_or_b32 exec_lo, exec_lo, s11
	s_mov_b32 s41, s36
	s_and_saveexec_b32 s18, s0
	s_cbranch_execz .LBB2_50
	s_branch .LBB2_49
.LBB2_233:
	s_and_not1_saveexec_b32 s1, s1
	s_cbranch_execz .LBB2_115
.LBB2_234:
	s_mov_b32 s0, exec_lo
                                        ; implicit-def: $vgpr56
	v_cmpx_lt_i32_e32 1, v54
	s_xor_b32 s0, exec_lo, s0
	s_cbranch_execz .LBB2_236
; %bb.235:
	v_and_b32_e32 v0, 0xcccccccc, v1
	s_delay_alu instid0(VALU_DEP_1) | instskip(NEXT) | instid1(VALU_DEP_1)
	v_lshrrev_b32_e32 v2, 2, v0
	v_or_b32_e32 v56, v2, v0
	scratch_store_b32 off, v56, s33 offset:100
.LBB2_236:
	s_or_saveexec_b32 s3, s0
	s_mov_b32 s0, 0
	s_mov_b32 s4, s2
	s_xor_b32 exec_lo, exec_lo, s3
; %bb.237:
	v_cmp_ne_u32_e32 vcc_lo, 1, v54
	s_and_not1_b32 s4, s2, exec_lo
	s_mov_b32 s0, exec_lo
                                        ; implicit-def: $vgpr56
	s_and_b32 s5, vcc_lo, exec_lo
	s_delay_alu instid0(SALU_CYCLE_1)
	s_or_b32 s4, s4, s5
; %bb.238:
	s_or_b32 exec_lo, exec_lo, s3
	s_delay_alu instid0(SALU_CYCLE_1)
	s_and_not1_b32 s2, s2, exec_lo
	s_and_b32 s3, s4, exec_lo
	s_and_b32 s0, s0, exec_lo
	s_or_b32 s2, s2, s3
	s_or_b32 exec_lo, exec_lo, s1
	s_and_saveexec_b32 s1, s2
	s_cbranch_execnz .LBB2_116
.LBB2_239:
	s_or_b32 exec_lo, exec_lo, s1
	s_and_saveexec_b32 s1, s0
	s_cbranch_execz .LBB2_241
.LBB2_240:
	v_and_b32_e32 v0, 0xaaaaaaaa, v1
	s_delay_alu instid0(VALU_DEP_1) | instskip(NEXT) | instid1(VALU_DEP_1)
	v_lshrrev_b32_e32 v1, 1, v0
	v_or_b32_e32 v56, v1, v0
	scratch_store_b32 off, v56, s33 offset:100
.LBB2_241:
	s_or_b32 exec_lo, exec_lo, s1
	v_not_b32_e32 v0, v56
	s_getpc_b64 s[46:47]
	s_add_u32 s46, s46, _ZN3sop14minatoIsop5RecEjjiPNS_3SopEP7VecsMemIjLi8192EE@rel32@lo+4
	s_addc_u32 s47, s47, _ZN3sop14minatoIsop5RecEjjiPNS_3SopEP7VecsMemIjLi8192EE@rel32@hi+12
	s_mov_b64 s[44:45], src_private_base
	s_add_i32 s0, s33, 48
	s_delay_alu instid0(SALU_CYCLE_1)
	v_dual_mov_b32 v2, v43 :: v_dual_mov_b32 v3, s0
	v_dual_mov_b32 v1, v40 :: v_dual_and_b32 v0, v57, v0
	v_dual_mov_b32 v5, v44 :: v_dual_mov_b32 v4, s45
	v_mov_b32_e32 v6, v45
	s_mov_b64 s[8:9], s[34:35]
	s_swappc_b64 s[30:31], s[46:47]
	s_add_i32 s0, s33, 64
	s_delay_alu instid0(SALU_CYCLE_1) | instskip(SKIP_3) | instid1(VALU_DEP_3)
	v_dual_mov_b32 v46, v0 :: v_dual_mov_b32 v3, s0
	v_not_b32_e32 v0, v40
	v_dual_mov_b32 v2, v43 :: v_dual_mov_b32 v5, v44
	v_dual_mov_b32 v1, v56 :: v_dual_mov_b32 v4, s45
	v_and_b32_e32 v0, v58, v0
	v_mov_b32_e32 v6, v45
	s_mov_b64 s[8:9], s[34:35]
	s_swappc_b64 s[30:31], s[46:47]
	s_delay_alu instid0(VALU_DEP_2) | instskip(SKIP_4) | instid1(VALU_DEP_3)
	v_mov_b32_e32 v47, v0
	v_not_b32_e32 v0, v46
	s_add_i32 s0, s33, 0x50
	v_and_b32_e32 v1, v40, v56
	v_dual_mov_b32 v3, s0 :: v_dual_mov_b32 v4, s45
	v_and_b32_e32 v0, v57, v0
	v_not_b32_e32 v2, v47
	v_dual_mov_b32 v5, v44 :: v_dual_mov_b32 v6, v45
	s_mov_b64 s[8:9], s[34:35]
	s_delay_alu instid0(VALU_DEP_2)
	v_and_or_b32 v0, v58, v2, v0
	v_mov_b32_e32 v2, v43
	s_swappc_b64 s[30:31], s[46:47]
	s_clause 0x2
	scratch_load_b64 v[67:68], off, s33 offset:48
	scratch_load_b64 v[64:65], off, s33 offset:64
	;; [unrolled: 1-line block ×3, first 2 shown]
	v_mov_b32_e32 v53, v0
	s_mov_b32 s17, 0
	s_mov_b32 s0, -1
	s_mov_b32 s20, s41
	s_mov_b32 s18, exec_lo
	s_waitcnt vmcnt(1)
	v_add_nc_u32_e32 v0, v65, v68
	s_delay_alu instid0(VALU_DEP_1) | instskip(SKIP_3) | instid1(VALU_DEP_3)
	v_add_nc_u32_e32 v2, v0, v67
	s_waitcnt vmcnt(0)
	v_dual_mov_b32 v66, 0 :: v_dual_add_nc_u32 v1, v0, v55
	v_mov_b32_e32 v67, 0
	v_add3_u32 v0, v2, v64, v54
	flat_store_b64 v[41:42], v[0:1]
	v_cmpx_lt_i32_e32 0, v1
	s_cbranch_execz .LBB2_417
; %bb.242:
	flat_load_b32 v0, v[44:45]
	v_mov_b32_e32 v66, 0
	s_mov_b32 s19, 0
	s_mov_b32 s0, exec_lo
	s_waitcnt vmcnt(0) lgkmcnt(0)
	v_dual_mov_b32 v67, 0 :: v_dual_add_nc_u32 v2, v0, v1
	s_delay_alu instid0(VALU_DEP_1)
	v_cmpx_gt_i32_e32 0x2001, v2
	s_xor_b32 s0, exec_lo, s0
	s_cbranch_execz .LBB2_244
; %bb.243:
	v_ashrrev_i32_e32 v3, 31, v2
	v_dual_mov_b32 v5, 0 :: v_dual_mov_b32 v4, v1
	s_mov_b32 s19, exec_lo
	flat_store_b32 v[44:45], v2
	v_lshlrev_b64 v[0:1], 2, v[2:3]
	v_lshlrev_b64 v[3:4], 2, v[4:5]
	s_delay_alu instid0(VALU_DEP_2) | instskip(NEXT) | instid1(VALU_DEP_3)
	v_add_co_u32 v0, vcc_lo, v44, v0
	v_add_co_ci_u32_e32 v1, vcc_lo, v45, v1, vcc_lo
	s_delay_alu instid0(VALU_DEP_2) | instskip(NEXT) | instid1(VALU_DEP_2)
	v_sub_co_u32 v0, vcc_lo, v0, v3
	v_sub_co_ci_u32_e32 v1, vcc_lo, v1, v4, vcc_lo
	s_delay_alu instid0(VALU_DEP_2) | instskip(NEXT) | instid1(VALU_DEP_2)
	v_add_co_u32 v66, vcc_lo, v0, 4
	v_add_co_ci_u32_e32 v67, vcc_lo, 0, v1, vcc_lo
.LBB2_244:
	s_or_saveexec_b32 s20, s0
	s_mov_b32 s0, s41
	s_xor_b32 exec_lo, exec_lo, s20
	s_cbranch_execz .LBB2_416
; %bb.245:
	s_load_b64 s[2:3], s[34:35], 0x50
	v_mbcnt_lo_u32_b32 v29, -1, 0
	v_mov_b32_e32 v6, 0
	v_mov_b32_e32 v7, 0
	s_delay_alu instid0(VALU_DEP_3) | instskip(NEXT) | instid1(VALU_DEP_1)
	v_readfirstlane_b32 s0, v29
	v_cmp_eq_u32_e64 s0, s0, v29
	s_delay_alu instid0(VALU_DEP_1)
	s_and_saveexec_b32 s1, s0
	s_cbranch_execz .LBB2_251
; %bb.246:
	v_mov_b32_e32 v0, 0
	s_mov_b32 s4, exec_lo
	s_waitcnt lgkmcnt(0)
	global_load_b64 v[3:4], v0, s[2:3] offset:24 glc
	s_waitcnt vmcnt(0)
	buffer_gl1_inv
	buffer_gl0_inv
	s_clause 0x1
	global_load_b64 v[1:2], v0, s[2:3] offset:40
	global_load_b64 v[5:6], v0, s[2:3]
	s_waitcnt vmcnt(1)
	v_and_b32_e32 v1, v1, v3
	v_and_b32_e32 v2, v2, v4
	s_delay_alu instid0(VALU_DEP_2) | instskip(NEXT) | instid1(VALU_DEP_2)
	v_mul_hi_u32 v7, v1, 24
	v_mul_lo_u32 v2, v2, 24
	v_mul_lo_u32 v1, v1, 24
	s_delay_alu instid0(VALU_DEP_2) | instskip(SKIP_1) | instid1(VALU_DEP_2)
	v_add_nc_u32_e32 v2, v7, v2
	s_waitcnt vmcnt(0)
	v_add_co_u32 v1, vcc_lo, v5, v1
	s_delay_alu instid0(VALU_DEP_2)
	v_add_co_ci_u32_e32 v2, vcc_lo, v6, v2, vcc_lo
	global_load_b64 v[1:2], v[1:2], off glc
	s_waitcnt vmcnt(0)
	global_atomic_cmpswap_b64 v[6:7], v0, v[1:4], s[2:3] offset:24 glc
	s_waitcnt vmcnt(0)
	buffer_gl1_inv
	buffer_gl0_inv
	v_cmpx_ne_u64_e64 v[6:7], v[3:4]
	s_cbranch_execz .LBB2_250
; %bb.247:
	s_mov_b32 s5, 0
.LBB2_248:                              ; =>This Inner Loop Header: Depth=1
	s_sleep 1
	s_clause 0x1
	global_load_b64 v[1:2], v0, s[2:3] offset:40
	global_load_b64 v[8:9], v0, s[2:3]
	v_dual_mov_b32 v3, v6 :: v_dual_mov_b32 v4, v7
	s_waitcnt vmcnt(1)
	s_delay_alu instid0(VALU_DEP_1) | instskip(NEXT) | instid1(VALU_DEP_2)
	v_and_b32_e32 v1, v1, v3
	v_and_b32_e32 v2, v2, v4
	s_waitcnt vmcnt(0)
	s_delay_alu instid0(VALU_DEP_2) | instskip(NEXT) | instid1(VALU_DEP_1)
	v_mad_u64_u32 v[5:6], null, v1, 24, v[8:9]
	v_mov_b32_e32 v1, v6
	s_delay_alu instid0(VALU_DEP_1)
	v_mad_u64_u32 v[6:7], null, v2, 24, v[1:2]
	global_load_b64 v[1:2], v[5:6], off glc
	s_waitcnt vmcnt(0)
	global_atomic_cmpswap_b64 v[6:7], v0, v[1:4], s[2:3] offset:24 glc
	s_waitcnt vmcnt(0)
	buffer_gl1_inv
	buffer_gl0_inv
	v_cmp_eq_u64_e32 vcc_lo, v[6:7], v[3:4]
	s_or_b32 s5, vcc_lo, s5
	s_delay_alu instid0(SALU_CYCLE_1)
	s_and_not1_b32 exec_lo, exec_lo, s5
	s_cbranch_execnz .LBB2_248
; %bb.249:
	s_or_b32 exec_lo, exec_lo, s5
.LBB2_250:
	s_delay_alu instid0(SALU_CYCLE_1)
	s_or_b32 exec_lo, exec_lo, s4
.LBB2_251:
	s_delay_alu instid0(SALU_CYCLE_1)
	s_or_b32 exec_lo, exec_lo, s1
	v_mov_b32_e32 v5, 0
	v_readfirstlane_b32 s4, v6
	v_readfirstlane_b32 s5, v7
	s_mov_b32 s1, exec_lo
	s_waitcnt lgkmcnt(0)
	s_clause 0x1
	global_load_b64 v[8:9], v5, s[2:3] offset:40
	global_load_b128 v[0:3], v5, s[2:3]
	s_waitcnt vmcnt(1)
	v_readfirstlane_b32 s6, v8
	v_readfirstlane_b32 s7, v9
	s_delay_alu instid0(VALU_DEP_1) | instskip(NEXT) | instid1(SALU_CYCLE_1)
	s_and_b64 s[6:7], s[4:5], s[6:7]
	s_mul_i32 s8, s7, 24
	s_mul_hi_u32 s9, s6, 24
	s_mul_i32 s10, s6, 24
	s_add_i32 s9, s9, s8
	s_waitcnt vmcnt(0)
	v_add_co_u32 v8, vcc_lo, v0, s10
	v_add_co_ci_u32_e32 v9, vcc_lo, s9, v1, vcc_lo
	s_and_saveexec_b32 s8, s0
	s_cbranch_execz .LBB2_253
; %bb.252:
	v_dual_mov_b32 v4, s1 :: v_dual_mov_b32 v7, 1
	v_mov_b32_e32 v6, 2
	global_store_b128 v[8:9], v[4:7], off offset:8
.LBB2_253:
	s_or_b32 exec_lo, exec_lo, s8
	s_lshl_b64 s[6:7], s[6:7], 12
	v_dual_mov_b32 v7, v5 :: v_dual_lshlrev_b32 v28, 6, v29
	v_add_co_u32 v2, vcc_lo, v2, s6
	v_add_co_ci_u32_e32 v3, vcc_lo, s7, v3, vcc_lo
	s_mov_b32 s8, 0
	s_delay_alu instid0(VALU_DEP_2)
	v_add_co_u32 v10, vcc_lo, v2, v28
	s_mov_b32 s11, s8
	s_mov_b32 s9, s8
	;; [unrolled: 1-line block ×3, first 2 shown]
	v_dual_mov_b32 v4, 33 :: v_dual_mov_b32 v15, s11
	v_dual_mov_b32 v6, v5 :: v_dual_mov_b32 v13, s9
	v_readfirstlane_b32 s6, v2
	v_readfirstlane_b32 s7, v3
	v_add_co_ci_u32_e32 v11, vcc_lo, 0, v3, vcc_lo
	v_mov_b32_e32 v14, s10
	v_mov_b32_e32 v12, s8
	s_clause 0x3
	global_store_b128 v28, v[4:7], s[6:7]
	global_store_b128 v28, v[12:15], s[6:7] offset:16
	global_store_b128 v28, v[12:15], s[6:7] offset:32
	;; [unrolled: 1-line block ×3, first 2 shown]
	s_and_saveexec_b32 s1, s0
	s_cbranch_execz .LBB2_261
; %bb.254:
	v_mov_b32_e32 v6, 0
	s_mov_b32 s6, exec_lo
	s_clause 0x1
	global_load_b64 v[14:15], v6, s[2:3] offset:32 glc
	global_load_b64 v[2:3], v6, s[2:3] offset:40
	v_dual_mov_b32 v13, s5 :: v_dual_mov_b32 v12, s4
	s_waitcnt vmcnt(0)
	v_and_b32_e32 v3, s5, v3
	v_and_b32_e32 v2, s4, v2
	s_delay_alu instid0(VALU_DEP_2) | instskip(NEXT) | instid1(VALU_DEP_2)
	v_mul_lo_u32 v3, v3, 24
	v_mul_hi_u32 v4, v2, 24
	v_mul_lo_u32 v2, v2, 24
	s_delay_alu instid0(VALU_DEP_2) | instskip(NEXT) | instid1(VALU_DEP_2)
	v_add_nc_u32_e32 v3, v4, v3
	v_add_co_u32 v4, vcc_lo, v0, v2
	s_delay_alu instid0(VALU_DEP_2)
	v_add_co_ci_u32_e32 v5, vcc_lo, v1, v3, vcc_lo
	global_store_b64 v[4:5], v[14:15], off
	s_waitcnt_vscnt null, 0x0
	global_atomic_cmpswap_b64 v[2:3], v6, v[12:15], s[2:3] offset:32 glc
	s_waitcnt vmcnt(0)
	v_cmpx_ne_u64_e64 v[2:3], v[14:15]
	s_cbranch_execz .LBB2_257
; %bb.255:
	s_mov_b32 s7, 0
.LBB2_256:                              ; =>This Inner Loop Header: Depth=1
	v_dual_mov_b32 v0, s4 :: v_dual_mov_b32 v1, s5
	s_sleep 1
	global_store_b64 v[4:5], v[2:3], off
	s_waitcnt_vscnt null, 0x0
	global_atomic_cmpswap_b64 v[0:1], v6, v[0:3], s[2:3] offset:32 glc
	s_waitcnt vmcnt(0)
	v_cmp_eq_u64_e32 vcc_lo, v[0:1], v[2:3]
	v_dual_mov_b32 v3, v1 :: v_dual_mov_b32 v2, v0
	s_or_b32 s7, vcc_lo, s7
	s_delay_alu instid0(SALU_CYCLE_1)
	s_and_not1_b32 exec_lo, exec_lo, s7
	s_cbranch_execnz .LBB2_256
.LBB2_257:
	s_or_b32 exec_lo, exec_lo, s6
	v_mov_b32_e32 v3, 0
	s_mov_b32 s7, exec_lo
	s_mov_b32 s6, exec_lo
	v_mbcnt_lo_u32_b32 v2, s7, 0
	global_load_b64 v[0:1], v3, s[2:3] offset:16
	v_cmpx_eq_u32_e32 0, v2
	s_cbranch_execz .LBB2_259
; %bb.258:
	s_bcnt1_i32_b32 s7, s7
	s_delay_alu instid0(SALU_CYCLE_1)
	v_mov_b32_e32 v2, s7
	s_waitcnt vmcnt(0)
	global_atomic_add_u64 v[0:1], v[2:3], off offset:8
.LBB2_259:
	s_or_b32 exec_lo, exec_lo, s6
	s_waitcnt vmcnt(0)
	global_load_b64 v[2:3], v[0:1], off offset:16
	s_waitcnt vmcnt(0)
	v_cmp_eq_u64_e32 vcc_lo, 0, v[2:3]
	s_cbranch_vccnz .LBB2_261
; %bb.260:
	global_load_b32 v0, v[0:1], off offset:24
	s_waitcnt vmcnt(0)
	v_dual_mov_b32 v1, 0 :: v_dual_and_b32 v4, 0xffffff, v0
	s_waitcnt_vscnt null, 0x0
	global_store_b64 v[2:3], v[0:1], off
	v_readfirstlane_b32 m0, v4
	s_sendmsg sendmsg(MSG_INTERRUPT)
.LBB2_261:
	s_or_b32 exec_lo, exec_lo, s1
	s_branch .LBB2_263
.LBB2_262:
	s_branch .LBB2_267
.LBB2_263:                              ; =>This Inner Loop Header: Depth=1
	v_mov_b32_e32 v0, 1
	s_and_saveexec_b32 s1, s0
	s_cbranch_execz .LBB2_265
; %bb.264:                              ;   in Loop: Header=BB2_263 Depth=1
	global_load_b32 v0, v[8:9], off offset:20 glc
	s_waitcnt vmcnt(0)
	buffer_gl1_inv
	buffer_gl0_inv
	v_and_b32_e32 v0, 1, v0
.LBB2_265:                              ;   in Loop: Header=BB2_263 Depth=1
	s_or_b32 exec_lo, exec_lo, s1
	s_delay_alu instid0(VALU_DEP_1) | instskip(NEXT) | instid1(VALU_DEP_1)
	v_readfirstlane_b32 s1, v0
	s_cmp_eq_u32 s1, 0
	s_cbranch_scc1 .LBB2_262
; %bb.266:                              ;   in Loop: Header=BB2_263 Depth=1
	s_sleep 1
	s_cbranch_execnz .LBB2_263
.LBB2_267:
	global_load_b64 v[0:1], v[10:11], off
	s_and_saveexec_b32 s1, s0
	s_cbranch_execz .LBB2_271
; %bb.268:
	v_mov_b32_e32 v8, 0
	s_clause 0x2
	global_load_b64 v[4:5], v8, s[2:3] offset:40
	global_load_b64 v[9:10], v8, s[2:3] offset:24 glc
	global_load_b64 v[6:7], v8, s[2:3]
	s_waitcnt vmcnt(2)
	v_add_co_u32 v11, vcc_lo, v4, 1
	v_add_co_ci_u32_e32 v12, vcc_lo, 0, v5, vcc_lo
	s_delay_alu instid0(VALU_DEP_2) | instskip(NEXT) | instid1(VALU_DEP_2)
	v_add_co_u32 v2, vcc_lo, v11, s4
	v_add_co_ci_u32_e32 v3, vcc_lo, s5, v12, vcc_lo
	s_delay_alu instid0(VALU_DEP_1) | instskip(SKIP_1) | instid1(VALU_DEP_1)
	v_cmp_eq_u64_e32 vcc_lo, 0, v[2:3]
	v_dual_cndmask_b32 v3, v3, v12 :: v_dual_cndmask_b32 v2, v2, v11
	v_and_b32_e32 v5, v3, v5
	s_delay_alu instid0(VALU_DEP_2) | instskip(NEXT) | instid1(VALU_DEP_2)
	v_and_b32_e32 v4, v2, v4
	v_mul_lo_u32 v5, v5, 24
	s_delay_alu instid0(VALU_DEP_2) | instskip(SKIP_1) | instid1(VALU_DEP_2)
	v_mul_hi_u32 v11, v4, 24
	v_mul_lo_u32 v4, v4, 24
	v_add_nc_u32_e32 v5, v11, v5
	s_waitcnt vmcnt(0)
	s_delay_alu instid0(VALU_DEP_2) | instskip(SKIP_1) | instid1(VALU_DEP_3)
	v_add_co_u32 v6, vcc_lo, v6, v4
	v_mov_b32_e32 v4, v9
	v_add_co_ci_u32_e32 v7, vcc_lo, v7, v5, vcc_lo
	v_mov_b32_e32 v5, v10
	global_store_b64 v[6:7], v[9:10], off
	s_waitcnt_vscnt null, 0x0
	global_atomic_cmpswap_b64 v[4:5], v8, v[2:5], s[2:3] offset:24 glc
	s_waitcnt vmcnt(0)
	v_cmp_ne_u64_e32 vcc_lo, v[4:5], v[9:10]
	s_and_b32 exec_lo, exec_lo, vcc_lo
	s_cbranch_execz .LBB2_271
; %bb.269:
	s_mov_b32 s0, 0
.LBB2_270:                              ; =>This Inner Loop Header: Depth=1
	s_sleep 1
	global_store_b64 v[6:7], v[4:5], off
	s_waitcnt_vscnt null, 0x0
	global_atomic_cmpswap_b64 v[9:10], v8, v[2:5], s[2:3] offset:24 glc
	s_waitcnt vmcnt(0)
	v_cmp_eq_u64_e32 vcc_lo, v[9:10], v[4:5]
	v_dual_mov_b32 v4, v9 :: v_dual_mov_b32 v5, v10
	s_or_b32 s0, vcc_lo, s0
	s_delay_alu instid0(SALU_CYCLE_1)
	s_and_not1_b32 exec_lo, exec_lo, s0
	s_cbranch_execnz .LBB2_270
.LBB2_271:
	s_or_b32 exec_lo, exec_lo, s1
	s_getpc_b64 s[4:5]
	s_add_u32 s4, s4, .str.28@rel32@lo+4
	s_addc_u32 s5, s5, .str.28@rel32@hi+12
	s_delay_alu instid0(SALU_CYCLE_1)
	s_cmp_lg_u64 s[4:5], 0
	s_cbranch_scc0 .LBB2_386
; %bb.272:
	s_waitcnt vmcnt(0)
	v_dual_mov_b32 v7, v1 :: v_dual_and_b32 v6, -3, v0
	v_dual_mov_b32 v3, 0 :: v_dual_mov_b32 v4, 2
	v_mov_b32_e32 v5, 1
	s_mov_b64 s[6:7], 35
	s_branch .LBB2_274
.LBB2_273:                              ;   in Loop: Header=BB2_274 Depth=1
	s_or_b32 exec_lo, exec_lo, s1
	s_sub_u32 s6, s6, s8
	s_subb_u32 s7, s7, s9
	s_add_u32 s4, s4, s8
	s_addc_u32 s5, s5, s9
	s_cmp_lg_u64 s[6:7], 0
	s_cbranch_scc0 .LBB2_385
.LBB2_274:                              ; =>This Loop Header: Depth=1
                                        ;     Child Loop BB2_277 Depth 2
                                        ;     Child Loop BB2_282 Depth 2
                                        ;     Child Loop BB2_291 Depth 2
                                        ;     Child Loop BB2_298 Depth 2
                                        ;     Child Loop BB2_305 Depth 2
                                        ;     Child Loop BB2_312 Depth 2
                                        ;     Child Loop BB2_319 Depth 2
                                        ;     Child Loop BB2_326 Depth 2
                                        ;     Child Loop BB2_334 Depth 2
                                        ;     Child Loop BB2_341 Depth 2
                                        ;     Child Loop BB2_348 Depth 2
	v_cmp_lt_u64_e64 s0, s[6:7], 56
	v_cmp_gt_u64_e64 s1, s[6:7], 7
                                        ; implicit-def: $sgpr14
	s_delay_alu instid0(VALU_DEP_2) | instskip(SKIP_2) | instid1(VALU_DEP_1)
	s_and_b32 s0, s0, exec_lo
	s_cselect_b32 s9, s7, 0
	s_cselect_b32 s8, s6, 56
	s_and_b32 vcc_lo, exec_lo, s1
	s_mov_b32 s0, -1
	s_cbranch_vccnz .LBB2_284
; %bb.275:                              ;   in Loop: Header=BB2_274 Depth=1
	s_waitcnt vmcnt(0)
	v_mov_b32_e32 v8, 0
	v_mov_b32_e32 v9, 0
	s_cmp_eq_u64 s[6:7], 0
	s_mov_b64 s[0:1], 0
	s_cbranch_scc1 .LBB2_278
; %bb.276:                              ;   in Loop: Header=BB2_274 Depth=1
	v_mov_b32_e32 v8, 0
	v_mov_b32_e32 v9, 0
	s_lshl_b64 s[10:11], s[8:9], 3
	s_mov_b64 s[12:13], s[4:5]
.LBB2_277:                              ;   Parent Loop BB2_274 Depth=1
                                        ; =>  This Inner Loop Header: Depth=2
	global_load_u8 v2, v3, s[12:13]
	s_waitcnt vmcnt(0)
	v_and_b32_e32 v2, 0xffff, v2
	s_delay_alu instid0(VALU_DEP_1)
	v_lshlrev_b64 v[10:11], s0, v[2:3]
	s_add_u32 s0, s0, 8
	s_addc_u32 s1, s1, 0
	s_add_u32 s12, s12, 1
	s_addc_u32 s13, s13, 0
	s_cmp_lg_u32 s10, s0
	v_or_b32_e32 v8, v10, v8
	v_or_b32_e32 v9, v11, v9
	s_cbranch_scc1 .LBB2_277
.LBB2_278:                              ;   in Loop: Header=BB2_274 Depth=1
	s_mov_b32 s14, 0
	s_mov_b64 s[0:1], s[4:5]
	s_cbranch_execz .LBB2_285
.LBB2_279:                              ;   in Loop: Header=BB2_274 Depth=1
	s_cmp_gt_u32 s14, 7
	s_cbranch_scc1 .LBB2_286
.LBB2_280:                              ;   in Loop: Header=BB2_274 Depth=1
	v_mov_b32_e32 v10, 0
	v_mov_b32_e32 v11, 0
	s_cmp_eq_u32 s14, 0
	s_cbranch_scc1 .LBB2_283
; %bb.281:                              ;   in Loop: Header=BB2_274 Depth=1
	s_mov_b64 s[10:11], 0
	s_mov_b64 s[12:13], 0
.LBB2_282:                              ;   Parent Loop BB2_274 Depth=1
                                        ; =>  This Inner Loop Header: Depth=2
	s_delay_alu instid0(SALU_CYCLE_1)
	s_add_u32 s22, s0, s12
	s_addc_u32 s23, s1, s13
	s_add_u32 s12, s12, 1
	global_load_u8 v2, v3, s[22:23]
	s_addc_u32 s13, s13, 0
	s_waitcnt vmcnt(0)
	v_and_b32_e32 v2, 0xffff, v2
	s_delay_alu instid0(VALU_DEP_1) | instskip(SKIP_3) | instid1(VALU_DEP_1)
	v_lshlrev_b64 v[12:13], s10, v[2:3]
	s_add_u32 s10, s10, 8
	s_addc_u32 s11, s11, 0
	s_cmp_lg_u32 s14, s12
	v_or_b32_e32 v10, v12, v10
	s_delay_alu instid0(VALU_DEP_2)
	v_or_b32_e32 v11, v13, v11
	s_cbranch_scc1 .LBB2_282
.LBB2_283:                              ;   in Loop: Header=BB2_274 Depth=1
	s_mov_b32 s15, 0
	s_cbranch_execz .LBB2_287
	s_branch .LBB2_288
.LBB2_284:                              ;   in Loop: Header=BB2_274 Depth=1
	s_and_not1_b32 vcc_lo, exec_lo, s0
	s_mov_b64 s[0:1], s[4:5]
	s_cbranch_vccnz .LBB2_279
.LBB2_285:                              ;   in Loop: Header=BB2_274 Depth=1
	global_load_b64 v[8:9], v3, s[4:5]
	s_add_i32 s14, s8, -8
	s_add_u32 s0, s4, 8
	s_addc_u32 s1, s5, 0
	s_cmp_gt_u32 s14, 7
	s_cbranch_scc0 .LBB2_280
.LBB2_286:                              ;   in Loop: Header=BB2_274 Depth=1
                                        ; implicit-def: $vgpr10_vgpr11
                                        ; implicit-def: $sgpr15
.LBB2_287:                              ;   in Loop: Header=BB2_274 Depth=1
	global_load_b64 v[10:11], v3, s[0:1]
	s_add_i32 s15, s14, -8
	s_add_u32 s0, s0, 8
	s_addc_u32 s1, s1, 0
.LBB2_288:                              ;   in Loop: Header=BB2_274 Depth=1
	s_cmp_gt_u32 s15, 7
	s_cbranch_scc1 .LBB2_293
; %bb.289:                              ;   in Loop: Header=BB2_274 Depth=1
	v_mov_b32_e32 v12, 0
	v_mov_b32_e32 v13, 0
	s_cmp_eq_u32 s15, 0
	s_cbranch_scc1 .LBB2_292
; %bb.290:                              ;   in Loop: Header=BB2_274 Depth=1
	s_mov_b64 s[10:11], 0
	s_mov_b64 s[12:13], 0
.LBB2_291:                              ;   Parent Loop BB2_274 Depth=1
                                        ; =>  This Inner Loop Header: Depth=2
	s_delay_alu instid0(SALU_CYCLE_1)
	s_add_u32 s22, s0, s12
	s_addc_u32 s23, s1, s13
	s_add_u32 s12, s12, 1
	global_load_u8 v2, v3, s[22:23]
	s_addc_u32 s13, s13, 0
	s_waitcnt vmcnt(0)
	v_and_b32_e32 v2, 0xffff, v2
	s_delay_alu instid0(VALU_DEP_1) | instskip(SKIP_3) | instid1(VALU_DEP_1)
	v_lshlrev_b64 v[14:15], s10, v[2:3]
	s_add_u32 s10, s10, 8
	s_addc_u32 s11, s11, 0
	s_cmp_lg_u32 s15, s12
	v_or_b32_e32 v12, v14, v12
	s_delay_alu instid0(VALU_DEP_2)
	v_or_b32_e32 v13, v15, v13
	s_cbranch_scc1 .LBB2_291
.LBB2_292:                              ;   in Loop: Header=BB2_274 Depth=1
	s_mov_b32 s14, 0
	s_cbranch_execz .LBB2_294
	s_branch .LBB2_295
.LBB2_293:                              ;   in Loop: Header=BB2_274 Depth=1
                                        ; implicit-def: $sgpr14
.LBB2_294:                              ;   in Loop: Header=BB2_274 Depth=1
	global_load_b64 v[12:13], v3, s[0:1]
	s_add_i32 s14, s15, -8
	s_add_u32 s0, s0, 8
	s_addc_u32 s1, s1, 0
.LBB2_295:                              ;   in Loop: Header=BB2_274 Depth=1
	s_cmp_gt_u32 s14, 7
	s_cbranch_scc1 .LBB2_300
; %bb.296:                              ;   in Loop: Header=BB2_274 Depth=1
	v_mov_b32_e32 v14, 0
	v_mov_b32_e32 v15, 0
	s_cmp_eq_u32 s14, 0
	s_cbranch_scc1 .LBB2_299
; %bb.297:                              ;   in Loop: Header=BB2_274 Depth=1
	s_mov_b64 s[10:11], 0
	s_mov_b64 s[12:13], 0
.LBB2_298:                              ;   Parent Loop BB2_274 Depth=1
                                        ; =>  This Inner Loop Header: Depth=2
	s_delay_alu instid0(SALU_CYCLE_1)
	s_add_u32 s22, s0, s12
	s_addc_u32 s23, s1, s13
	s_add_u32 s12, s12, 1
	global_load_u8 v2, v3, s[22:23]
	s_addc_u32 s13, s13, 0
	s_waitcnt vmcnt(0)
	v_and_b32_e32 v2, 0xffff, v2
	s_delay_alu instid0(VALU_DEP_1) | instskip(SKIP_3) | instid1(VALU_DEP_1)
	v_lshlrev_b64 v[16:17], s10, v[2:3]
	s_add_u32 s10, s10, 8
	s_addc_u32 s11, s11, 0
	s_cmp_lg_u32 s14, s12
	v_or_b32_e32 v14, v16, v14
	s_delay_alu instid0(VALU_DEP_2)
	v_or_b32_e32 v15, v17, v15
	s_cbranch_scc1 .LBB2_298
.LBB2_299:                              ;   in Loop: Header=BB2_274 Depth=1
	s_mov_b32 s15, 0
	s_cbranch_execz .LBB2_301
	s_branch .LBB2_302
.LBB2_300:                              ;   in Loop: Header=BB2_274 Depth=1
                                        ; implicit-def: $vgpr14_vgpr15
                                        ; implicit-def: $sgpr15
.LBB2_301:                              ;   in Loop: Header=BB2_274 Depth=1
	global_load_b64 v[14:15], v3, s[0:1]
	s_add_i32 s15, s14, -8
	s_add_u32 s0, s0, 8
	s_addc_u32 s1, s1, 0
.LBB2_302:                              ;   in Loop: Header=BB2_274 Depth=1
	s_cmp_gt_u32 s15, 7
	s_cbranch_scc1 .LBB2_307
; %bb.303:                              ;   in Loop: Header=BB2_274 Depth=1
	v_mov_b32_e32 v16, 0
	v_mov_b32_e32 v17, 0
	s_cmp_eq_u32 s15, 0
	s_cbranch_scc1 .LBB2_306
; %bb.304:                              ;   in Loop: Header=BB2_274 Depth=1
	s_mov_b64 s[10:11], 0
	s_mov_b64 s[12:13], 0
.LBB2_305:                              ;   Parent Loop BB2_274 Depth=1
                                        ; =>  This Inner Loop Header: Depth=2
	s_delay_alu instid0(SALU_CYCLE_1)
	s_add_u32 s22, s0, s12
	s_addc_u32 s23, s1, s13
	s_add_u32 s12, s12, 1
	global_load_u8 v2, v3, s[22:23]
	s_addc_u32 s13, s13, 0
	s_waitcnt vmcnt(0)
	v_and_b32_e32 v2, 0xffff, v2
	s_delay_alu instid0(VALU_DEP_1) | instskip(SKIP_3) | instid1(VALU_DEP_1)
	v_lshlrev_b64 v[18:19], s10, v[2:3]
	s_add_u32 s10, s10, 8
	s_addc_u32 s11, s11, 0
	s_cmp_lg_u32 s15, s12
	v_or_b32_e32 v16, v18, v16
	s_delay_alu instid0(VALU_DEP_2)
	v_or_b32_e32 v17, v19, v17
	s_cbranch_scc1 .LBB2_305
.LBB2_306:                              ;   in Loop: Header=BB2_274 Depth=1
	s_mov_b32 s14, 0
	s_cbranch_execz .LBB2_308
	s_branch .LBB2_309
.LBB2_307:                              ;   in Loop: Header=BB2_274 Depth=1
                                        ; implicit-def: $sgpr14
.LBB2_308:                              ;   in Loop: Header=BB2_274 Depth=1
	global_load_b64 v[16:17], v3, s[0:1]
	s_add_i32 s14, s15, -8
	s_add_u32 s0, s0, 8
	s_addc_u32 s1, s1, 0
.LBB2_309:                              ;   in Loop: Header=BB2_274 Depth=1
	s_cmp_gt_u32 s14, 7
	s_cbranch_scc1 .LBB2_314
; %bb.310:                              ;   in Loop: Header=BB2_274 Depth=1
	v_mov_b32_e32 v18, 0
	v_mov_b32_e32 v19, 0
	s_cmp_eq_u32 s14, 0
	s_cbranch_scc1 .LBB2_313
; %bb.311:                              ;   in Loop: Header=BB2_274 Depth=1
	s_mov_b64 s[10:11], 0
	s_mov_b64 s[12:13], 0
.LBB2_312:                              ;   Parent Loop BB2_274 Depth=1
                                        ; =>  This Inner Loop Header: Depth=2
	s_delay_alu instid0(SALU_CYCLE_1)
	s_add_u32 s22, s0, s12
	s_addc_u32 s23, s1, s13
	s_add_u32 s12, s12, 1
	global_load_u8 v2, v3, s[22:23]
	s_addc_u32 s13, s13, 0
	s_waitcnt vmcnt(0)
	v_and_b32_e32 v2, 0xffff, v2
	s_delay_alu instid0(VALU_DEP_1) | instskip(SKIP_3) | instid1(VALU_DEP_1)
	v_lshlrev_b64 v[20:21], s10, v[2:3]
	s_add_u32 s10, s10, 8
	s_addc_u32 s11, s11, 0
	s_cmp_lg_u32 s14, s12
	v_or_b32_e32 v18, v20, v18
	s_delay_alu instid0(VALU_DEP_2)
	v_or_b32_e32 v19, v21, v19
	s_cbranch_scc1 .LBB2_312
.LBB2_313:                              ;   in Loop: Header=BB2_274 Depth=1
	s_mov_b32 s15, 0
	s_cbranch_execz .LBB2_315
	s_branch .LBB2_316
.LBB2_314:                              ;   in Loop: Header=BB2_274 Depth=1
                                        ; implicit-def: $vgpr18_vgpr19
                                        ; implicit-def: $sgpr15
.LBB2_315:                              ;   in Loop: Header=BB2_274 Depth=1
	global_load_b64 v[18:19], v3, s[0:1]
	s_add_i32 s15, s14, -8
	s_add_u32 s0, s0, 8
	s_addc_u32 s1, s1, 0
.LBB2_316:                              ;   in Loop: Header=BB2_274 Depth=1
	s_cmp_gt_u32 s15, 7
	s_cbranch_scc1 .LBB2_321
; %bb.317:                              ;   in Loop: Header=BB2_274 Depth=1
	v_mov_b32_e32 v20, 0
	v_mov_b32_e32 v21, 0
	s_cmp_eq_u32 s15, 0
	s_cbranch_scc1 .LBB2_320
; %bb.318:                              ;   in Loop: Header=BB2_274 Depth=1
	s_mov_b64 s[10:11], 0
	s_mov_b64 s[12:13], s[0:1]
.LBB2_319:                              ;   Parent Loop BB2_274 Depth=1
                                        ; =>  This Inner Loop Header: Depth=2
	global_load_u8 v2, v3, s[12:13]
	s_add_i32 s15, s15, -1
	s_waitcnt vmcnt(0)
	v_and_b32_e32 v2, 0xffff, v2
	s_delay_alu instid0(VALU_DEP_1)
	v_lshlrev_b64 v[22:23], s10, v[2:3]
	s_add_u32 s10, s10, 8
	s_addc_u32 s11, s11, 0
	s_add_u32 s12, s12, 1
	s_addc_u32 s13, s13, 0
	s_cmp_lg_u32 s15, 0
	v_or_b32_e32 v20, v22, v20
	v_or_b32_e32 v21, v23, v21
	s_cbranch_scc1 .LBB2_319
.LBB2_320:                              ;   in Loop: Header=BB2_274 Depth=1
	s_cbranch_execz .LBB2_322
	s_branch .LBB2_323
.LBB2_321:                              ;   in Loop: Header=BB2_274 Depth=1
.LBB2_322:                              ;   in Loop: Header=BB2_274 Depth=1
	global_load_b64 v[20:21], v3, s[0:1]
.LBB2_323:                              ;   in Loop: Header=BB2_274 Depth=1
	v_readfirstlane_b32 s0, v29
	v_mov_b32_e32 v26, 0
	v_mov_b32_e32 v27, 0
	s_delay_alu instid0(VALU_DEP_3) | instskip(NEXT) | instid1(VALU_DEP_1)
	v_cmp_eq_u32_e64 s0, s0, v29
	s_and_saveexec_b32 s1, s0
	s_cbranch_execz .LBB2_329
; %bb.324:                              ;   in Loop: Header=BB2_274 Depth=1
	global_load_b64 v[24:25], v3, s[2:3] offset:24 glc
	s_waitcnt vmcnt(0)
	buffer_gl1_inv
	buffer_gl0_inv
	s_clause 0x1
	global_load_b64 v[22:23], v3, s[2:3] offset:40
	global_load_b64 v[26:27], v3, s[2:3]
	s_mov_b32 s10, exec_lo
	s_waitcnt vmcnt(1)
	v_and_b32_e32 v2, v23, v25
	v_and_b32_e32 v22, v22, v24
	s_delay_alu instid0(VALU_DEP_2) | instskip(NEXT) | instid1(VALU_DEP_2)
	v_mul_lo_u32 v2, v2, 24
	v_mul_hi_u32 v23, v22, 24
	v_mul_lo_u32 v22, v22, 24
	s_delay_alu instid0(VALU_DEP_2) | instskip(SKIP_1) | instid1(VALU_DEP_2)
	v_add_nc_u32_e32 v2, v23, v2
	s_waitcnt vmcnt(0)
	v_add_co_u32 v22, vcc_lo, v26, v22
	s_delay_alu instid0(VALU_DEP_2)
	v_add_co_ci_u32_e32 v23, vcc_lo, v27, v2, vcc_lo
	global_load_b64 v[22:23], v[22:23], off glc
	s_waitcnt vmcnt(0)
	global_atomic_cmpswap_b64 v[26:27], v3, v[22:25], s[2:3] offset:24 glc
	s_waitcnt vmcnt(0)
	buffer_gl1_inv
	buffer_gl0_inv
	v_cmpx_ne_u64_e64 v[26:27], v[24:25]
	s_cbranch_execz .LBB2_328
; %bb.325:                              ;   in Loop: Header=BB2_274 Depth=1
	s_mov_b32 s11, 0
	.p2align	6
.LBB2_326:                              ;   Parent Loop BB2_274 Depth=1
                                        ; =>  This Inner Loop Header: Depth=2
	s_sleep 1
	s_clause 0x1
	global_load_b64 v[22:23], v3, s[2:3] offset:40
	global_load_b64 v[30:31], v3, s[2:3]
	v_dual_mov_b32 v24, v26 :: v_dual_mov_b32 v25, v27
	s_waitcnt vmcnt(1)
	s_delay_alu instid0(VALU_DEP_1) | instskip(SKIP_1) | instid1(VALU_DEP_1)
	v_and_b32_e32 v2, v22, v24
	s_waitcnt vmcnt(0)
	v_mad_u64_u32 v[26:27], null, v2, 24, v[30:31]
	v_and_b32_e32 v30, v23, v25
	s_delay_alu instid0(VALU_DEP_2) | instskip(NEXT) | instid1(VALU_DEP_1)
	v_mov_b32_e32 v2, v27
	v_mad_u64_u32 v[22:23], null, v30, 24, v[2:3]
	s_delay_alu instid0(VALU_DEP_1)
	v_mov_b32_e32 v27, v22
	global_load_b64 v[22:23], v[26:27], off glc
	s_waitcnt vmcnt(0)
	global_atomic_cmpswap_b64 v[26:27], v3, v[22:25], s[2:3] offset:24 glc
	s_waitcnt vmcnt(0)
	buffer_gl1_inv
	buffer_gl0_inv
	v_cmp_eq_u64_e32 vcc_lo, v[26:27], v[24:25]
	s_or_b32 s11, vcc_lo, s11
	s_delay_alu instid0(SALU_CYCLE_1)
	s_and_not1_b32 exec_lo, exec_lo, s11
	s_cbranch_execnz .LBB2_326
; %bb.327:                              ;   in Loop: Header=BB2_274 Depth=1
	s_or_b32 exec_lo, exec_lo, s11
.LBB2_328:                              ;   in Loop: Header=BB2_274 Depth=1
	s_delay_alu instid0(SALU_CYCLE_1)
	s_or_b32 exec_lo, exec_lo, s10
.LBB2_329:                              ;   in Loop: Header=BB2_274 Depth=1
	s_delay_alu instid0(SALU_CYCLE_1)
	s_or_b32 exec_lo, exec_lo, s1
	s_clause 0x1
	global_load_b64 v[30:31], v3, s[2:3] offset:40
	global_load_b128 v[22:25], v3, s[2:3]
	v_readfirstlane_b32 s10, v26
	v_readfirstlane_b32 s11, v27
	s_mov_b32 s1, exec_lo
	s_waitcnt vmcnt(1)
	v_readfirstlane_b32 s12, v30
	v_readfirstlane_b32 s13, v31
	s_delay_alu instid0(VALU_DEP_1) | instskip(NEXT) | instid1(SALU_CYCLE_1)
	s_and_b64 s[12:13], s[10:11], s[12:13]
	s_mul_i32 s14, s13, 24
	s_mul_hi_u32 s15, s12, 24
	s_mul_i32 s16, s12, 24
	s_add_i32 s15, s15, s14
	s_waitcnt vmcnt(0)
	v_add_co_u32 v26, vcc_lo, v22, s16
	v_add_co_ci_u32_e32 v27, vcc_lo, s15, v23, vcc_lo
	s_and_saveexec_b32 s14, s0
	s_cbranch_execz .LBB2_331
; %bb.330:                              ;   in Loop: Header=BB2_274 Depth=1
	v_mov_b32_e32 v2, s1
	global_store_b128 v[26:27], v[2:5], off offset:8
.LBB2_331:                              ;   in Loop: Header=BB2_274 Depth=1
	s_or_b32 exec_lo, exec_lo, s14
	s_lshl_b64 s[12:13], s[12:13], 12
	v_or_b32_e32 v2, 2, v6
	v_add_co_u32 v24, vcc_lo, v24, s12
	v_add_co_ci_u32_e32 v25, vcc_lo, s13, v25, vcc_lo
	v_cmp_gt_u64_e64 vcc_lo, s[6:7], 56
	s_lshl_b32 s1, s8, 2
	s_delay_alu instid0(VALU_DEP_3) | instskip(SKIP_4) | instid1(VALU_DEP_1)
	v_readfirstlane_b32 s12, v24
	s_add_i32 s1, s1, 28
	v_readfirstlane_b32 s13, v25
	s_and_b32 s1, s1, 0x1e0
	v_cndmask_b32_e32 v2, v2, v6, vcc_lo
	v_and_or_b32 v6, 0xffffff1f, v2, s1
	s_clause 0x3
	global_store_b128 v28, v[6:9], s[12:13]
	global_store_b128 v28, v[10:13], s[12:13] offset:16
	global_store_b128 v28, v[14:17], s[12:13] offset:32
	global_store_b128 v28, v[18:21], s[12:13] offset:48
	s_and_saveexec_b32 s1, s0
	s_cbranch_execz .LBB2_339
; %bb.332:                              ;   in Loop: Header=BB2_274 Depth=1
	s_clause 0x1
	global_load_b64 v[14:15], v3, s[2:3] offset:32 glc
	global_load_b64 v[6:7], v3, s[2:3] offset:40
	v_dual_mov_b32 v12, s10 :: v_dual_mov_b32 v13, s11
	s_waitcnt vmcnt(0)
	v_readfirstlane_b32 s12, v6
	v_readfirstlane_b32 s13, v7
	s_delay_alu instid0(VALU_DEP_1) | instskip(NEXT) | instid1(SALU_CYCLE_1)
	s_and_b64 s[12:13], s[12:13], s[10:11]
	s_mul_i32 s13, s13, 24
	s_mul_hi_u32 s14, s12, 24
	s_mul_i32 s12, s12, 24
	s_add_i32 s14, s14, s13
	v_add_co_u32 v10, vcc_lo, v22, s12
	v_add_co_ci_u32_e32 v11, vcc_lo, s14, v23, vcc_lo
	s_mov_b32 s12, exec_lo
	global_store_b64 v[10:11], v[14:15], off
	s_waitcnt_vscnt null, 0x0
	global_atomic_cmpswap_b64 v[8:9], v3, v[12:15], s[2:3] offset:32 glc
	s_waitcnt vmcnt(0)
	v_cmpx_ne_u64_e64 v[8:9], v[14:15]
	s_cbranch_execz .LBB2_335
; %bb.333:                              ;   in Loop: Header=BB2_274 Depth=1
	s_mov_b32 s13, 0
.LBB2_334:                              ;   Parent Loop BB2_274 Depth=1
                                        ; =>  This Inner Loop Header: Depth=2
	v_dual_mov_b32 v6, s10 :: v_dual_mov_b32 v7, s11
	s_sleep 1
	global_store_b64 v[10:11], v[8:9], off
	s_waitcnt_vscnt null, 0x0
	global_atomic_cmpswap_b64 v[6:7], v3, v[6:9], s[2:3] offset:32 glc
	s_waitcnt vmcnt(0)
	v_cmp_eq_u64_e32 vcc_lo, v[6:7], v[8:9]
	v_dual_mov_b32 v9, v7 :: v_dual_mov_b32 v8, v6
	s_or_b32 s13, vcc_lo, s13
	s_delay_alu instid0(SALU_CYCLE_1)
	s_and_not1_b32 exec_lo, exec_lo, s13
	s_cbranch_execnz .LBB2_334
.LBB2_335:                              ;   in Loop: Header=BB2_274 Depth=1
	s_or_b32 exec_lo, exec_lo, s12
	global_load_b64 v[6:7], v3, s[2:3] offset:16
	s_mov_b32 s13, exec_lo
	s_mov_b32 s12, exec_lo
	v_mbcnt_lo_u32_b32 v2, s13, 0
	s_delay_alu instid0(VALU_DEP_1)
	v_cmpx_eq_u32_e32 0, v2
	s_cbranch_execz .LBB2_337
; %bb.336:                              ;   in Loop: Header=BB2_274 Depth=1
	s_bcnt1_i32_b32 s13, s13
	s_delay_alu instid0(SALU_CYCLE_1)
	v_mov_b32_e32 v2, s13
	s_waitcnt vmcnt(0)
	global_atomic_add_u64 v[6:7], v[2:3], off offset:8
.LBB2_337:                              ;   in Loop: Header=BB2_274 Depth=1
	s_or_b32 exec_lo, exec_lo, s12
	s_waitcnt vmcnt(0)
	global_load_b64 v[8:9], v[6:7], off offset:16
	s_waitcnt vmcnt(0)
	v_cmp_eq_u64_e32 vcc_lo, 0, v[8:9]
	s_cbranch_vccnz .LBB2_339
; %bb.338:                              ;   in Loop: Header=BB2_274 Depth=1
	global_load_b32 v2, v[6:7], off offset:24
	s_waitcnt vmcnt(0)
	v_and_b32_e32 v6, 0xffffff, v2
	s_waitcnt_vscnt null, 0x0
	global_store_b64 v[8:9], v[2:3], off
	v_readfirstlane_b32 m0, v6
	s_sendmsg sendmsg(MSG_INTERRUPT)
.LBB2_339:                              ;   in Loop: Header=BB2_274 Depth=1
	s_or_b32 exec_lo, exec_lo, s1
	v_add_co_u32 v6, vcc_lo, v24, v28
	v_add_co_ci_u32_e32 v7, vcc_lo, 0, v25, vcc_lo
	s_branch .LBB2_341
	.p2align	6
.LBB2_340:                              ;   in Loop: Header=BB2_274 Depth=1
	s_branch .LBB2_345
.LBB2_341:                              ;   Parent Loop BB2_274 Depth=1
                                        ; =>  This Inner Loop Header: Depth=2
	v_mov_b32_e32 v2, 1
	s_and_saveexec_b32 s1, s0
	s_cbranch_execz .LBB2_343
; %bb.342:                              ;   in Loop: Header=BB2_341 Depth=2
	global_load_b32 v2, v[26:27], off offset:20 glc
	s_waitcnt vmcnt(0)
	buffer_gl1_inv
	buffer_gl0_inv
	v_and_b32_e32 v2, 1, v2
.LBB2_343:                              ;   in Loop: Header=BB2_341 Depth=2
	s_or_b32 exec_lo, exec_lo, s1
	s_delay_alu instid0(VALU_DEP_1) | instskip(NEXT) | instid1(VALU_DEP_1)
	v_readfirstlane_b32 s1, v2
	s_cmp_eq_u32 s1, 0
	s_cbranch_scc1 .LBB2_340
; %bb.344:                              ;   in Loop: Header=BB2_341 Depth=2
	s_sleep 1
	s_cbranch_execnz .LBB2_341
.LBB2_345:                              ;   in Loop: Header=BB2_274 Depth=1
	global_load_b128 v[6:9], v[6:7], off
	s_and_saveexec_b32 s1, s0
	s_cbranch_execz .LBB2_273
; %bb.346:                              ;   in Loop: Header=BB2_274 Depth=1
	s_clause 0x2
	global_load_b64 v[10:11], v3, s[2:3] offset:40
	global_load_b64 v[14:15], v3, s[2:3] offset:24 glc
	global_load_b64 v[12:13], v3, s[2:3]
	s_waitcnt vmcnt(2)
	v_add_co_u32 v2, vcc_lo, v10, 1
	v_add_co_ci_u32_e32 v16, vcc_lo, 0, v11, vcc_lo
	s_delay_alu instid0(VALU_DEP_2) | instskip(NEXT) | instid1(VALU_DEP_2)
	v_add_co_u32 v8, vcc_lo, v2, s10
	v_add_co_ci_u32_e32 v9, vcc_lo, s11, v16, vcc_lo
	s_delay_alu instid0(VALU_DEP_1) | instskip(SKIP_1) | instid1(VALU_DEP_1)
	v_cmp_eq_u64_e32 vcc_lo, 0, v[8:9]
	v_dual_cndmask_b32 v9, v9, v16 :: v_dual_cndmask_b32 v8, v8, v2
	v_and_b32_e32 v2, v9, v11
	s_delay_alu instid0(VALU_DEP_2) | instskip(NEXT) | instid1(VALU_DEP_2)
	v_and_b32_e32 v10, v8, v10
	v_mul_lo_u32 v2, v2, 24
	s_delay_alu instid0(VALU_DEP_2) | instskip(SKIP_1) | instid1(VALU_DEP_2)
	v_mul_hi_u32 v11, v10, 24
	v_mul_lo_u32 v10, v10, 24
	v_add_nc_u32_e32 v2, v11, v2
	s_waitcnt vmcnt(1)
	v_mov_b32_e32 v11, v15
	s_waitcnt vmcnt(0)
	s_delay_alu instid0(VALU_DEP_3)
	v_add_co_u32 v12, vcc_lo, v12, v10
	v_mov_b32_e32 v10, v14
	v_add_co_ci_u32_e32 v13, vcc_lo, v13, v2, vcc_lo
	global_store_b64 v[12:13], v[14:15], off
	s_waitcnt_vscnt null, 0x0
	global_atomic_cmpswap_b64 v[10:11], v3, v[8:11], s[2:3] offset:24 glc
	s_waitcnt vmcnt(0)
	v_cmp_ne_u64_e32 vcc_lo, v[10:11], v[14:15]
	s_and_b32 exec_lo, exec_lo, vcc_lo
	s_cbranch_execz .LBB2_273
; %bb.347:                              ;   in Loop: Header=BB2_274 Depth=1
	s_mov_b32 s0, 0
.LBB2_348:                              ;   Parent Loop BB2_274 Depth=1
                                        ; =>  This Inner Loop Header: Depth=2
	s_sleep 1
	global_store_b64 v[12:13], v[10:11], off
	s_waitcnt_vscnt null, 0x0
	global_atomic_cmpswap_b64 v[14:15], v3, v[8:11], s[2:3] offset:24 glc
	s_waitcnt vmcnt(0)
	v_cmp_eq_u64_e32 vcc_lo, v[14:15], v[10:11]
	v_dual_mov_b32 v10, v14 :: v_dual_mov_b32 v11, v15
	s_or_b32 s0, vcc_lo, s0
	s_delay_alu instid0(SALU_CYCLE_1)
	s_and_not1_b32 exec_lo, exec_lo, s0
	s_cbranch_execnz .LBB2_348
	s_branch .LBB2_273
.LBB2_349:
	s_branch .LBB2_378
.LBB2_350:
	s_cbranch_execz .LBB2_378
; %bb.351:
	v_readfirstlane_b32 s0, v29
	s_waitcnt vmcnt(0)
	v_mov_b32_e32 v8, 0
	v_mov_b32_e32 v9, 0
	s_delay_alu instid0(VALU_DEP_3) | instskip(NEXT) | instid1(VALU_DEP_1)
	v_cmp_eq_u32_e64 s0, s0, v29
	s_and_saveexec_b32 s1, s0
	s_cbranch_execz .LBB2_357
; %bb.352:
	v_mov_b32_e32 v2, 0
	s_mov_b32 s4, exec_lo
	global_load_b64 v[5:6], v2, s[2:3] offset:24 glc
	s_waitcnt vmcnt(0)
	buffer_gl1_inv
	buffer_gl0_inv
	s_clause 0x1
	global_load_b64 v[3:4], v2, s[2:3] offset:40
	global_load_b64 v[7:8], v2, s[2:3]
	s_waitcnt vmcnt(1)
	v_and_b32_e32 v3, v3, v5
	v_and_b32_e32 v4, v4, v6
	s_delay_alu instid0(VALU_DEP_2) | instskip(NEXT) | instid1(VALU_DEP_2)
	v_mul_hi_u32 v9, v3, 24
	v_mul_lo_u32 v4, v4, 24
	v_mul_lo_u32 v3, v3, 24
	s_delay_alu instid0(VALU_DEP_2) | instskip(SKIP_1) | instid1(VALU_DEP_2)
	v_add_nc_u32_e32 v4, v9, v4
	s_waitcnt vmcnt(0)
	v_add_co_u32 v3, vcc_lo, v7, v3
	s_delay_alu instid0(VALU_DEP_2)
	v_add_co_ci_u32_e32 v4, vcc_lo, v8, v4, vcc_lo
	global_load_b64 v[3:4], v[3:4], off glc
	s_waitcnt vmcnt(0)
	global_atomic_cmpswap_b64 v[8:9], v2, v[3:6], s[2:3] offset:24 glc
	s_waitcnt vmcnt(0)
	buffer_gl1_inv
	buffer_gl0_inv
	v_cmpx_ne_u64_e64 v[8:9], v[5:6]
	s_cbranch_execz .LBB2_356
; %bb.353:
	s_mov_b32 s5, 0
	.p2align	6
.LBB2_354:                              ; =>This Inner Loop Header: Depth=1
	s_sleep 1
	s_clause 0x1
	global_load_b64 v[3:4], v2, s[2:3] offset:40
	global_load_b64 v[10:11], v2, s[2:3]
	v_dual_mov_b32 v5, v8 :: v_dual_mov_b32 v6, v9
	s_waitcnt vmcnt(1)
	s_delay_alu instid0(VALU_DEP_1) | instskip(NEXT) | instid1(VALU_DEP_2)
	v_and_b32_e32 v3, v3, v5
	v_and_b32_e32 v4, v4, v6
	s_waitcnt vmcnt(0)
	s_delay_alu instid0(VALU_DEP_2) | instskip(NEXT) | instid1(VALU_DEP_1)
	v_mad_u64_u32 v[7:8], null, v3, 24, v[10:11]
	v_mov_b32_e32 v3, v8
	s_delay_alu instid0(VALU_DEP_1)
	v_mad_u64_u32 v[8:9], null, v4, 24, v[3:4]
	global_load_b64 v[3:4], v[7:8], off glc
	s_waitcnt vmcnt(0)
	global_atomic_cmpswap_b64 v[8:9], v2, v[3:6], s[2:3] offset:24 glc
	s_waitcnt vmcnt(0)
	buffer_gl1_inv
	buffer_gl0_inv
	v_cmp_eq_u64_e32 vcc_lo, v[8:9], v[5:6]
	s_or_b32 s5, vcc_lo, s5
	s_delay_alu instid0(SALU_CYCLE_1)
	s_and_not1_b32 exec_lo, exec_lo, s5
	s_cbranch_execnz .LBB2_354
; %bb.355:
	s_or_b32 exec_lo, exec_lo, s5
.LBB2_356:
	s_delay_alu instid0(SALU_CYCLE_1)
	s_or_b32 exec_lo, exec_lo, s4
.LBB2_357:
	s_delay_alu instid0(SALU_CYCLE_1)
	s_or_b32 exec_lo, exec_lo, s1
	v_mov_b32_e32 v2, 0
	v_readfirstlane_b32 s4, v8
	v_readfirstlane_b32 s5, v9
	s_mov_b32 s1, exec_lo
	s_clause 0x1
	global_load_b64 v[10:11], v2, s[2:3] offset:40
	global_load_b128 v[4:7], v2, s[2:3]
	s_waitcnt vmcnt(1)
	v_readfirstlane_b32 s6, v10
	v_readfirstlane_b32 s7, v11
	s_delay_alu instid0(VALU_DEP_1) | instskip(NEXT) | instid1(SALU_CYCLE_1)
	s_and_b64 s[6:7], s[4:5], s[6:7]
	s_mul_i32 s8, s7, 24
	s_mul_hi_u32 s9, s6, 24
	s_mul_i32 s10, s6, 24
	s_add_i32 s9, s9, s8
	s_waitcnt vmcnt(0)
	v_add_co_u32 v8, vcc_lo, v4, s10
	v_add_co_ci_u32_e32 v9, vcc_lo, s9, v5, vcc_lo
	s_and_saveexec_b32 s8, s0
	s_cbranch_execz .LBB2_359
; %bb.358:
	v_dual_mov_b32 v10, s1 :: v_dual_mov_b32 v11, v2
	v_dual_mov_b32 v12, 2 :: v_dual_mov_b32 v13, 1
	global_store_b128 v[8:9], v[10:13], off offset:8
.LBB2_359:
	s_or_b32 exec_lo, exec_lo, s8
	s_lshl_b64 s[6:7], s[6:7], 12
	s_mov_b32 s8, 0
	v_add_co_u32 v6, vcc_lo, v6, s6
	v_add_co_ci_u32_e32 v7, vcc_lo, s7, v7, vcc_lo
	s_mov_b32 s11, s8
	s_mov_b32 s9, s8
	;; [unrolled: 1-line block ×3, first 2 shown]
	v_and_or_b32 v0, 0xffffff1d, v0, 34
	v_mov_b32_e32 v3, v2
	v_readfirstlane_b32 s6, v6
	v_readfirstlane_b32 s7, v7
	v_dual_mov_b32 v13, s11 :: v_dual_mov_b32 v10, s8
	v_dual_mov_b32 v12, s10 :: v_dual_mov_b32 v11, s9
	s_clause 0x3
	global_store_b128 v28, v[0:3], s[6:7]
	global_store_b128 v28, v[10:13], s[6:7] offset:16
	global_store_b128 v28, v[10:13], s[6:7] offset:32
	;; [unrolled: 1-line block ×3, first 2 shown]
	s_and_saveexec_b32 s1, s0
	s_cbranch_execz .LBB2_367
; %bb.360:
	v_dual_mov_b32 v6, 0 :: v_dual_mov_b32 v11, s5
	v_mov_b32_e32 v10, s4
	s_clause 0x1
	global_load_b64 v[12:13], v6, s[2:3] offset:32 glc
	global_load_b64 v[0:1], v6, s[2:3] offset:40
	s_waitcnt vmcnt(0)
	v_readfirstlane_b32 s6, v0
	v_readfirstlane_b32 s7, v1
	s_delay_alu instid0(VALU_DEP_1) | instskip(NEXT) | instid1(SALU_CYCLE_1)
	s_and_b64 s[6:7], s[6:7], s[4:5]
	s_mul_i32 s7, s7, 24
	s_mul_hi_u32 s8, s6, 24
	s_mul_i32 s6, s6, 24
	s_add_i32 s8, s8, s7
	v_add_co_u32 v4, vcc_lo, v4, s6
	v_add_co_ci_u32_e32 v5, vcc_lo, s8, v5, vcc_lo
	s_mov_b32 s6, exec_lo
	global_store_b64 v[4:5], v[12:13], off
	s_waitcnt_vscnt null, 0x0
	global_atomic_cmpswap_b64 v[2:3], v6, v[10:13], s[2:3] offset:32 glc
	s_waitcnt vmcnt(0)
	v_cmpx_ne_u64_e64 v[2:3], v[12:13]
	s_cbranch_execz .LBB2_363
; %bb.361:
	s_mov_b32 s7, 0
.LBB2_362:                              ; =>This Inner Loop Header: Depth=1
	v_dual_mov_b32 v0, s4 :: v_dual_mov_b32 v1, s5
	s_sleep 1
	global_store_b64 v[4:5], v[2:3], off
	s_waitcnt_vscnt null, 0x0
	global_atomic_cmpswap_b64 v[0:1], v6, v[0:3], s[2:3] offset:32 glc
	s_waitcnt vmcnt(0)
	v_cmp_eq_u64_e32 vcc_lo, v[0:1], v[2:3]
	v_dual_mov_b32 v3, v1 :: v_dual_mov_b32 v2, v0
	s_or_b32 s7, vcc_lo, s7
	s_delay_alu instid0(SALU_CYCLE_1)
	s_and_not1_b32 exec_lo, exec_lo, s7
	s_cbranch_execnz .LBB2_362
.LBB2_363:
	s_or_b32 exec_lo, exec_lo, s6
	v_mov_b32_e32 v3, 0
	s_mov_b32 s7, exec_lo
	s_mov_b32 s6, exec_lo
	v_mbcnt_lo_u32_b32 v2, s7, 0
	global_load_b64 v[0:1], v3, s[2:3] offset:16
	v_cmpx_eq_u32_e32 0, v2
	s_cbranch_execz .LBB2_365
; %bb.364:
	s_bcnt1_i32_b32 s7, s7
	s_delay_alu instid0(SALU_CYCLE_1)
	v_mov_b32_e32 v2, s7
	s_waitcnt vmcnt(0)
	global_atomic_add_u64 v[0:1], v[2:3], off offset:8
.LBB2_365:
	s_or_b32 exec_lo, exec_lo, s6
	s_waitcnt vmcnt(0)
	global_load_b64 v[2:3], v[0:1], off offset:16
	s_waitcnt vmcnt(0)
	v_cmp_eq_u64_e32 vcc_lo, 0, v[2:3]
	s_cbranch_vccnz .LBB2_367
; %bb.366:
	global_load_b32 v0, v[0:1], off offset:24
	s_waitcnt vmcnt(0)
	v_dual_mov_b32 v1, 0 :: v_dual_and_b32 v4, 0xffffff, v0
	s_waitcnt_vscnt null, 0x0
	global_store_b64 v[2:3], v[0:1], off
	v_readfirstlane_b32 m0, v4
	s_sendmsg sendmsg(MSG_INTERRUPT)
.LBB2_367:
	s_or_b32 exec_lo, exec_lo, s1
	s_branch .LBB2_369
	.p2align	6
.LBB2_368:
	s_branch .LBB2_373
.LBB2_369:                              ; =>This Inner Loop Header: Depth=1
	v_mov_b32_e32 v0, 1
	s_and_saveexec_b32 s1, s0
	s_cbranch_execz .LBB2_371
; %bb.370:                              ;   in Loop: Header=BB2_369 Depth=1
	global_load_b32 v0, v[8:9], off offset:20 glc
	s_waitcnt vmcnt(0)
	buffer_gl1_inv
	buffer_gl0_inv
	v_and_b32_e32 v0, 1, v0
.LBB2_371:                              ;   in Loop: Header=BB2_369 Depth=1
	s_or_b32 exec_lo, exec_lo, s1
	s_delay_alu instid0(VALU_DEP_1) | instskip(NEXT) | instid1(VALU_DEP_1)
	v_readfirstlane_b32 s1, v0
	s_cmp_eq_u32 s1, 0
	s_cbranch_scc1 .LBB2_368
; %bb.372:                              ;   in Loop: Header=BB2_369 Depth=1
	s_sleep 1
	s_cbranch_execnz .LBB2_369
.LBB2_373:
	s_and_saveexec_b32 s1, s0
	s_cbranch_execz .LBB2_377
; %bb.374:
	v_mov_b32_e32 v6, 0
	s_clause 0x2
	global_load_b64 v[2:3], v6, s[2:3] offset:40
	global_load_b64 v[7:8], v6, s[2:3] offset:24 glc
	global_load_b64 v[4:5], v6, s[2:3]
	s_waitcnt vmcnt(2)
	v_add_co_u32 v9, vcc_lo, v2, 1
	v_add_co_ci_u32_e32 v10, vcc_lo, 0, v3, vcc_lo
	s_delay_alu instid0(VALU_DEP_2) | instskip(NEXT) | instid1(VALU_DEP_2)
	v_add_co_u32 v0, vcc_lo, v9, s4
	v_add_co_ci_u32_e32 v1, vcc_lo, s5, v10, vcc_lo
	s_delay_alu instid0(VALU_DEP_1) | instskip(SKIP_1) | instid1(VALU_DEP_1)
	v_cmp_eq_u64_e32 vcc_lo, 0, v[0:1]
	v_dual_cndmask_b32 v1, v1, v10 :: v_dual_cndmask_b32 v0, v0, v9
	v_and_b32_e32 v3, v1, v3
	s_delay_alu instid0(VALU_DEP_2) | instskip(NEXT) | instid1(VALU_DEP_2)
	v_and_b32_e32 v2, v0, v2
	v_mul_lo_u32 v3, v3, 24
	s_delay_alu instid0(VALU_DEP_2) | instskip(SKIP_1) | instid1(VALU_DEP_2)
	v_mul_hi_u32 v9, v2, 24
	v_mul_lo_u32 v2, v2, 24
	v_add_nc_u32_e32 v3, v9, v3
	s_waitcnt vmcnt(0)
	s_delay_alu instid0(VALU_DEP_2) | instskip(SKIP_1) | instid1(VALU_DEP_3)
	v_add_co_u32 v4, vcc_lo, v4, v2
	v_mov_b32_e32 v2, v7
	v_add_co_ci_u32_e32 v5, vcc_lo, v5, v3, vcc_lo
	v_mov_b32_e32 v3, v8
	global_store_b64 v[4:5], v[7:8], off
	s_waitcnt_vscnt null, 0x0
	global_atomic_cmpswap_b64 v[2:3], v6, v[0:3], s[2:3] offset:24 glc
	s_waitcnt vmcnt(0)
	v_cmp_ne_u64_e32 vcc_lo, v[2:3], v[7:8]
	s_and_b32 exec_lo, exec_lo, vcc_lo
	s_cbranch_execz .LBB2_377
; %bb.375:
	s_mov_b32 s0, 0
.LBB2_376:                              ; =>This Inner Loop Header: Depth=1
	s_sleep 1
	global_store_b64 v[4:5], v[2:3], off
	s_waitcnt_vscnt null, 0x0
	global_atomic_cmpswap_b64 v[7:8], v6, v[0:3], s[2:3] offset:24 glc
	s_waitcnt vmcnt(0)
	v_cmp_eq_u64_e32 vcc_lo, v[7:8], v[2:3]
	v_dual_mov_b32 v2, v7 :: v_dual_mov_b32 v3, v8
	s_or_b32 s0, vcc_lo, s0
	s_delay_alu instid0(SALU_CYCLE_1)
	s_and_not1_b32 exec_lo, exec_lo, s0
	s_cbranch_execnz .LBB2_376
.LBB2_377:
	s_or_b32 exec_lo, exec_lo, s1
.LBB2_378:
	s_getpc_b64 s[0:1]
	s_add_u32 s0, s0, .str.29@rel32@lo+4
	s_addc_u32 s1, s1, .str.29@rel32@hi+12
	s_getpc_b64 s[2:3]
	s_add_u32 s2, s2, .str.19@rel32@lo+4
	s_addc_u32 s3, s3, .str.19@rel32@hi+12
	s_getpc_b64 s[4:5]
	s_add_u32 s4, s4, __PRETTY_FUNCTION__._ZN7VecsMemIjLi8192EE5fetchEi@rel32@lo+4
	s_addc_u32 s5, s5, __PRETTY_FUNCTION__._ZN7VecsMemIjLi8192EE5fetchEi@rel32@hi+12
	s_waitcnt vmcnt(0)
	v_dual_mov_b32 v0, s0 :: v_dual_mov_b32 v1, s1
	v_dual_mov_b32 v2, s2 :: v_dual_mov_b32 v3, s3
	;; [unrolled: 1-line block ×3, first 2 shown]
	v_mov_b32_e32 v6, s5
	s_mov_b64 s[8:9], s[34:35]
	s_getpc_b64 s[6:7]
	s_add_u32 s6, s6, __assert_fail@rel32@lo+4
	s_addc_u32 s7, s7, __assert_fail@rel32@hi+12
	s_delay_alu instid0(SALU_CYCLE_1)
	s_swappc_b64 s[30:31], s[6:7]
	s_or_b32 s0, s17, exec_lo
.LBB2_379:
	s_or_b32 exec_lo, exec_lo, s22
	v_mov_b32_e32 v0, s21
	s_and_not1_b32 s1, s18, exec_lo
	s_and_b32 s2, s20, exec_lo
	s_and_not1_b32 s3, s17, exec_lo
	s_and_b32 s0, s0, exec_lo
	s_or_b32 s18, s1, s2
	s_or_b32 s17, s3, s0
.LBB2_380:
	s_or_b32 exec_lo, exec_lo, s19
	s_delay_alu instid0(SALU_CYCLE_1)
	s_and_not1_b32 s2, s36, exec_lo
	s_and_b32 s3, s17, exec_lo
	s_and_b32 s0, s18, exec_lo
	s_xor_b32 s1, exec_lo, -1
	s_or_b32 s2, s2, s3
.LBB2_381:
	s_or_b32 exec_lo, exec_lo, s38
	s_delay_alu instid0(SALU_CYCLE_1)
	s_and_not1_b32 s3, s36, exec_lo
	s_and_b32 s2, s2, exec_lo
	s_and_b32 s0, s0, exec_lo
	;; [unrolled: 1-line block ×3, first 2 shown]
	s_or_b32 s36, s3, s2
	s_or_b32 exec_lo, exec_lo, s37
	s_and_saveexec_b32 s1, s36
	s_delay_alu instid0(SALU_CYCLE_1)
	s_xor_b32 s1, exec_lo, s1
	s_cbranch_execnz .LBB2_8
.LBB2_382:
	s_or_b32 exec_lo, exec_lo, s1
	s_and_saveexec_b32 s1, s17
	s_cbranch_execz .LBB2_384
.LBB2_383:
	v_mov_b32_e32 v0, 0
	s_or_b32 s0, s0, exec_lo
	s_delay_alu instid0(VALU_DEP_1)
	v_mov_b32_e32 v1, v0
	v_mov_b32_e32 v2, v0
	;; [unrolled: 1-line block ×3, first 2 shown]
	flat_store_b128 v[41:42], v[0:3]
.LBB2_384:
	s_or_b32 exec_lo, exec_lo, s1
	s_and_saveexec_b32 s1, s0
	s_delay_alu instid0(SALU_CYCLE_1)
	s_or_b32 exec_lo, exec_lo, s1
	s_clause 0xa
	scratch_load_b32 v58, off, s33
	scratch_load_b32 v57, off, s33 offset:4
	scratch_load_b32 v56, off, s33 offset:8
	;; [unrolled: 1-line block ×10, first 2 shown]
	v_readlane_b32 s30, v59, 13
	v_readlane_b32 s31, v59, 14
	v_readlane_b32 s47, v59, 12
	v_readlane_b32 s46, v59, 11
	v_readlane_b32 s45, v59, 10
	v_readlane_b32 s44, v59, 9
	v_readlane_b32 s42, v59, 8
	v_readlane_b32 s41, v59, 7
	v_readlane_b32 s40, v59, 6
	v_readlane_b32 s39, v59, 5
	v_readlane_b32 s38, v59, 4
	v_readlane_b32 s37, v59, 3
	v_readlane_b32 s36, v59, 2
	v_readlane_b32 s35, v59, 1
	v_readlane_b32 s34, v59, 0
	v_readlane_b32 s0, v59, 15
	s_or_saveexec_b32 s1, -1
	scratch_load_b32 v59, off, s33 offset:104 ; 4-byte Folded Reload
	s_mov_b32 exec_lo, s1
	s_addk_i32 s32, 0xff90
	s_mov_b32 s33, s0
	s_waitcnt vmcnt(0) lgkmcnt(0)
	s_setpc_b64 s[30:31]
.LBB2_385:
	s_mov_b32 s0, 0
	s_branch .LBB2_387
.LBB2_386:
	s_mov_b32 s0, -1
.LBB2_387:
	s_delay_alu instid0(SALU_CYCLE_1)
	s_and_b32 vcc_lo, exec_lo, s0
	s_cbranch_vccz .LBB2_415
; %bb.388:
	v_readfirstlane_b32 s0, v29
	s_waitcnt vmcnt(0)
	v_mov_b32_e32 v8, 0
	v_mov_b32_e32 v9, 0
	s_delay_alu instid0(VALU_DEP_3) | instskip(NEXT) | instid1(VALU_DEP_1)
	v_cmp_eq_u32_e64 s0, s0, v29
	s_and_saveexec_b32 s1, s0
	s_cbranch_execz .LBB2_394
; %bb.389:
	v_mov_b32_e32 v2, 0
	s_mov_b32 s4, exec_lo
	global_load_b64 v[5:6], v2, s[2:3] offset:24 glc
	s_waitcnt vmcnt(0)
	buffer_gl1_inv
	buffer_gl0_inv
	s_clause 0x1
	global_load_b64 v[3:4], v2, s[2:3] offset:40
	global_load_b64 v[7:8], v2, s[2:3]
	s_waitcnt vmcnt(1)
	v_and_b32_e32 v3, v3, v5
	v_and_b32_e32 v4, v4, v6
	s_delay_alu instid0(VALU_DEP_2) | instskip(NEXT) | instid1(VALU_DEP_2)
	v_mul_hi_u32 v9, v3, 24
	v_mul_lo_u32 v4, v4, 24
	v_mul_lo_u32 v3, v3, 24
	s_delay_alu instid0(VALU_DEP_2) | instskip(SKIP_1) | instid1(VALU_DEP_2)
	v_add_nc_u32_e32 v4, v9, v4
	s_waitcnt vmcnt(0)
	v_add_co_u32 v3, vcc_lo, v7, v3
	s_delay_alu instid0(VALU_DEP_2)
	v_add_co_ci_u32_e32 v4, vcc_lo, v8, v4, vcc_lo
	global_load_b64 v[3:4], v[3:4], off glc
	s_waitcnt vmcnt(0)
	global_atomic_cmpswap_b64 v[8:9], v2, v[3:6], s[2:3] offset:24 glc
	s_waitcnt vmcnt(0)
	buffer_gl1_inv
	buffer_gl0_inv
	v_cmpx_ne_u64_e64 v[8:9], v[5:6]
	s_cbranch_execz .LBB2_393
; %bb.390:
	s_mov_b32 s5, 0
.LBB2_391:                              ; =>This Inner Loop Header: Depth=1
	s_sleep 1
	s_clause 0x1
	global_load_b64 v[3:4], v2, s[2:3] offset:40
	global_load_b64 v[10:11], v2, s[2:3]
	v_dual_mov_b32 v5, v8 :: v_dual_mov_b32 v6, v9
	s_waitcnt vmcnt(1)
	s_delay_alu instid0(VALU_DEP_1) | instskip(NEXT) | instid1(VALU_DEP_2)
	v_and_b32_e32 v3, v3, v5
	v_and_b32_e32 v4, v4, v6
	s_waitcnt vmcnt(0)
	s_delay_alu instid0(VALU_DEP_2) | instskip(NEXT) | instid1(VALU_DEP_1)
	v_mad_u64_u32 v[7:8], null, v3, 24, v[10:11]
	v_mov_b32_e32 v3, v8
	s_delay_alu instid0(VALU_DEP_1)
	v_mad_u64_u32 v[8:9], null, v4, 24, v[3:4]
	global_load_b64 v[3:4], v[7:8], off glc
	s_waitcnt vmcnt(0)
	global_atomic_cmpswap_b64 v[8:9], v2, v[3:6], s[2:3] offset:24 glc
	s_waitcnt vmcnt(0)
	buffer_gl1_inv
	buffer_gl0_inv
	v_cmp_eq_u64_e32 vcc_lo, v[8:9], v[5:6]
	s_or_b32 s5, vcc_lo, s5
	s_delay_alu instid0(SALU_CYCLE_1)
	s_and_not1_b32 exec_lo, exec_lo, s5
	s_cbranch_execnz .LBB2_391
; %bb.392:
	s_or_b32 exec_lo, exec_lo, s5
.LBB2_393:
	s_delay_alu instid0(SALU_CYCLE_1)
	s_or_b32 exec_lo, exec_lo, s4
.LBB2_394:
	s_delay_alu instid0(SALU_CYCLE_1)
	s_or_b32 exec_lo, exec_lo, s1
	v_mov_b32_e32 v2, 0
	v_readfirstlane_b32 s4, v8
	v_readfirstlane_b32 s5, v9
	s_mov_b32 s1, exec_lo
	s_clause 0x1
	global_load_b64 v[10:11], v2, s[2:3] offset:40
	global_load_b128 v[4:7], v2, s[2:3]
	s_waitcnt vmcnt(1)
	v_readfirstlane_b32 s6, v10
	v_readfirstlane_b32 s7, v11
	s_delay_alu instid0(VALU_DEP_1) | instskip(NEXT) | instid1(SALU_CYCLE_1)
	s_and_b64 s[6:7], s[4:5], s[6:7]
	s_mul_i32 s8, s7, 24
	s_mul_hi_u32 s9, s6, 24
	s_mul_i32 s10, s6, 24
	s_add_i32 s9, s9, s8
	s_waitcnt vmcnt(0)
	v_add_co_u32 v8, vcc_lo, v4, s10
	v_add_co_ci_u32_e32 v9, vcc_lo, s9, v5, vcc_lo
	s_and_saveexec_b32 s8, s0
	s_cbranch_execz .LBB2_396
; %bb.395:
	v_dual_mov_b32 v10, s1 :: v_dual_mov_b32 v11, v2
	v_dual_mov_b32 v12, 2 :: v_dual_mov_b32 v13, 1
	global_store_b128 v[8:9], v[10:13], off offset:8
.LBB2_396:
	s_or_b32 exec_lo, exec_lo, s8
	s_lshl_b64 s[6:7], s[6:7], 12
	s_mov_b32 s8, 0
	v_add_co_u32 v6, vcc_lo, v6, s6
	v_add_co_ci_u32_e32 v7, vcc_lo, s7, v7, vcc_lo
	s_mov_b32 s11, s8
	s_mov_b32 s9, s8
	;; [unrolled: 1-line block ×3, first 2 shown]
	v_and_or_b32 v0, 0xffffff1d, v0, 34
	v_mov_b32_e32 v3, v2
	v_readfirstlane_b32 s6, v6
	v_readfirstlane_b32 s7, v7
	v_dual_mov_b32 v13, s11 :: v_dual_mov_b32 v10, s8
	v_dual_mov_b32 v12, s10 :: v_dual_mov_b32 v11, s9
	s_clause 0x3
	global_store_b128 v28, v[0:3], s[6:7]
	global_store_b128 v28, v[10:13], s[6:7] offset:16
	global_store_b128 v28, v[10:13], s[6:7] offset:32
	;; [unrolled: 1-line block ×3, first 2 shown]
	s_and_saveexec_b32 s1, s0
	s_cbranch_execz .LBB2_404
; %bb.397:
	v_dual_mov_b32 v6, 0 :: v_dual_mov_b32 v11, s5
	v_mov_b32_e32 v10, s4
	s_clause 0x1
	global_load_b64 v[12:13], v6, s[2:3] offset:32 glc
	global_load_b64 v[0:1], v6, s[2:3] offset:40
	s_waitcnt vmcnt(0)
	v_readfirstlane_b32 s6, v0
	v_readfirstlane_b32 s7, v1
	s_delay_alu instid0(VALU_DEP_1) | instskip(NEXT) | instid1(SALU_CYCLE_1)
	s_and_b64 s[6:7], s[6:7], s[4:5]
	s_mul_i32 s7, s7, 24
	s_mul_hi_u32 s8, s6, 24
	s_mul_i32 s6, s6, 24
	s_add_i32 s8, s8, s7
	v_add_co_u32 v4, vcc_lo, v4, s6
	v_add_co_ci_u32_e32 v5, vcc_lo, s8, v5, vcc_lo
	s_mov_b32 s6, exec_lo
	global_store_b64 v[4:5], v[12:13], off
	s_waitcnt_vscnt null, 0x0
	global_atomic_cmpswap_b64 v[2:3], v6, v[10:13], s[2:3] offset:32 glc
	s_waitcnt vmcnt(0)
	v_cmpx_ne_u64_e64 v[2:3], v[12:13]
	s_cbranch_execz .LBB2_400
; %bb.398:
	s_mov_b32 s7, 0
.LBB2_399:                              ; =>This Inner Loop Header: Depth=1
	v_dual_mov_b32 v0, s4 :: v_dual_mov_b32 v1, s5
	s_sleep 1
	global_store_b64 v[4:5], v[2:3], off
	s_waitcnt_vscnt null, 0x0
	global_atomic_cmpswap_b64 v[0:1], v6, v[0:3], s[2:3] offset:32 glc
	s_waitcnt vmcnt(0)
	v_cmp_eq_u64_e32 vcc_lo, v[0:1], v[2:3]
	v_dual_mov_b32 v3, v1 :: v_dual_mov_b32 v2, v0
	s_or_b32 s7, vcc_lo, s7
	s_delay_alu instid0(SALU_CYCLE_1)
	s_and_not1_b32 exec_lo, exec_lo, s7
	s_cbranch_execnz .LBB2_399
.LBB2_400:
	s_or_b32 exec_lo, exec_lo, s6
	v_mov_b32_e32 v3, 0
	s_mov_b32 s7, exec_lo
	s_mov_b32 s6, exec_lo
	v_mbcnt_lo_u32_b32 v2, s7, 0
	global_load_b64 v[0:1], v3, s[2:3] offset:16
	v_cmpx_eq_u32_e32 0, v2
	s_cbranch_execz .LBB2_402
; %bb.401:
	s_bcnt1_i32_b32 s7, s7
	s_delay_alu instid0(SALU_CYCLE_1)
	v_mov_b32_e32 v2, s7
	s_waitcnt vmcnt(0)
	global_atomic_add_u64 v[0:1], v[2:3], off offset:8
.LBB2_402:
	s_or_b32 exec_lo, exec_lo, s6
	s_waitcnt vmcnt(0)
	global_load_b64 v[2:3], v[0:1], off offset:16
	s_waitcnt vmcnt(0)
	v_cmp_eq_u64_e32 vcc_lo, 0, v[2:3]
	s_cbranch_vccnz .LBB2_404
; %bb.403:
	global_load_b32 v0, v[0:1], off offset:24
	s_waitcnt vmcnt(0)
	v_dual_mov_b32 v1, 0 :: v_dual_and_b32 v4, 0xffffff, v0
	s_waitcnt_vscnt null, 0x0
	global_store_b64 v[2:3], v[0:1], off
	v_readfirstlane_b32 m0, v4
	s_sendmsg sendmsg(MSG_INTERRUPT)
.LBB2_404:
	s_or_b32 exec_lo, exec_lo, s1
	s_branch .LBB2_406
.LBB2_405:
	s_branch .LBB2_410
.LBB2_406:                              ; =>This Inner Loop Header: Depth=1
	v_mov_b32_e32 v0, 1
	s_and_saveexec_b32 s1, s0
	s_cbranch_execz .LBB2_408
; %bb.407:                              ;   in Loop: Header=BB2_406 Depth=1
	global_load_b32 v0, v[8:9], off offset:20 glc
	s_waitcnt vmcnt(0)
	buffer_gl1_inv
	buffer_gl0_inv
	v_and_b32_e32 v0, 1, v0
.LBB2_408:                              ;   in Loop: Header=BB2_406 Depth=1
	s_or_b32 exec_lo, exec_lo, s1
	s_delay_alu instid0(VALU_DEP_1) | instskip(NEXT) | instid1(VALU_DEP_1)
	v_readfirstlane_b32 s1, v0
	s_cmp_eq_u32 s1, 0
	s_cbranch_scc1 .LBB2_405
; %bb.409:                              ;   in Loop: Header=BB2_406 Depth=1
	s_sleep 1
	s_cbranch_execnz .LBB2_406
.LBB2_410:
	s_and_saveexec_b32 s1, s0
	s_cbranch_execz .LBB2_414
; %bb.411:
	v_mov_b32_e32 v6, 0
	s_clause 0x2
	global_load_b64 v[2:3], v6, s[2:3] offset:40
	global_load_b64 v[7:8], v6, s[2:3] offset:24 glc
	global_load_b64 v[4:5], v6, s[2:3]
	s_waitcnt vmcnt(2)
	v_add_co_u32 v9, vcc_lo, v2, 1
	v_add_co_ci_u32_e32 v10, vcc_lo, 0, v3, vcc_lo
	s_delay_alu instid0(VALU_DEP_2) | instskip(NEXT) | instid1(VALU_DEP_2)
	v_add_co_u32 v0, vcc_lo, v9, s4
	v_add_co_ci_u32_e32 v1, vcc_lo, s5, v10, vcc_lo
	s_delay_alu instid0(VALU_DEP_1) | instskip(SKIP_1) | instid1(VALU_DEP_1)
	v_cmp_eq_u64_e32 vcc_lo, 0, v[0:1]
	v_dual_cndmask_b32 v1, v1, v10 :: v_dual_cndmask_b32 v0, v0, v9
	v_and_b32_e32 v3, v1, v3
	s_delay_alu instid0(VALU_DEP_2) | instskip(NEXT) | instid1(VALU_DEP_2)
	v_and_b32_e32 v2, v0, v2
	v_mul_lo_u32 v3, v3, 24
	s_delay_alu instid0(VALU_DEP_2) | instskip(SKIP_1) | instid1(VALU_DEP_2)
	v_mul_hi_u32 v9, v2, 24
	v_mul_lo_u32 v2, v2, 24
	v_add_nc_u32_e32 v3, v9, v3
	s_waitcnt vmcnt(0)
	s_delay_alu instid0(VALU_DEP_2) | instskip(SKIP_1) | instid1(VALU_DEP_3)
	v_add_co_u32 v4, vcc_lo, v4, v2
	v_mov_b32_e32 v2, v7
	v_add_co_ci_u32_e32 v5, vcc_lo, v5, v3, vcc_lo
	v_mov_b32_e32 v3, v8
	global_store_b64 v[4:5], v[7:8], off
	s_waitcnt_vscnt null, 0x0
	global_atomic_cmpswap_b64 v[2:3], v6, v[0:3], s[2:3] offset:24 glc
	s_waitcnt vmcnt(0)
	v_cmp_ne_u64_e32 vcc_lo, v[2:3], v[7:8]
	s_and_b32 exec_lo, exec_lo, vcc_lo
	s_cbranch_execz .LBB2_414
; %bb.412:
	s_mov_b32 s0, 0
.LBB2_413:                              ; =>This Inner Loop Header: Depth=1
	s_sleep 1
	global_store_b64 v[4:5], v[2:3], off
	s_waitcnt_vscnt null, 0x0
	global_atomic_cmpswap_b64 v[7:8], v6, v[0:3], s[2:3] offset:24 glc
	s_waitcnt vmcnt(0)
	v_cmp_eq_u64_e32 vcc_lo, v[7:8], v[2:3]
	v_dual_mov_b32 v2, v7 :: v_dual_mov_b32 v3, v8
	s_or_b32 s0, vcc_lo, s0
	s_delay_alu instid0(SALU_CYCLE_1)
	s_and_not1_b32 exec_lo, exec_lo, s0
	s_cbranch_execnz .LBB2_413
.LBB2_414:
	s_or_b32 exec_lo, exec_lo, s1
.LBB2_415:
	s_getpc_b64 s[0:1]
	s_add_u32 s0, s0, .str.29@rel32@lo+4
	s_addc_u32 s1, s1, .str.29@rel32@hi+12
	s_getpc_b64 s[2:3]
	s_add_u32 s2, s2, .str.19@rel32@lo+4
	s_addc_u32 s3, s3, .str.19@rel32@hi+12
	s_getpc_b64 s[4:5]
	s_add_u32 s4, s4, __PRETTY_FUNCTION__._ZN7VecsMemIjLi8192EE5fetchEi@rel32@lo+4
	s_addc_u32 s5, s5, __PRETTY_FUNCTION__._ZN7VecsMemIjLi8192EE5fetchEi@rel32@hi+12
	s_waitcnt vmcnt(0)
	v_dual_mov_b32 v0, s0 :: v_dual_mov_b32 v1, s1
	v_dual_mov_b32 v2, s2 :: v_dual_mov_b32 v3, s3
	;; [unrolled: 1-line block ×3, first 2 shown]
	v_mov_b32_e32 v6, s5
	s_mov_b64 s[8:9], s[34:35]
	s_getpc_b64 s[6:7]
	s_add_u32 s6, s6, __assert_fail@rel32@lo+4
	s_addc_u32 s7, s7, __assert_fail@rel32@hi+12
	s_delay_alu instid0(SALU_CYCLE_1)
	s_swappc_b64 s[30:31], s[6:7]
	s_or_b32 s0, s41, exec_lo
.LBB2_416:
	s_or_b32 exec_lo, exec_lo, s20
	s_delay_alu instid0(SALU_CYCLE_1) | instskip(SKIP_1) | instid1(SALU_CYCLE_1)
	s_and_not1_b32 s1, s41, exec_lo
	s_and_b32 s0, s0, exec_lo
	s_or_b32 s20, s1, s0
	s_or_not1_b32 s0, s19, exec_lo
.LBB2_417:
	s_or_b32 exec_lo, exec_lo, s18
                                        ; implicit-def: $vgpr0
	s_and_saveexec_b32 s18, s0
	s_cbranch_execz .LBB2_439
; %bb.418:
	s_mov_b32 s19, 0
	s_mov_b32 s21, s20
	flat_store_b64 v[41:42], v[66:67] offset:8
                                        ; implicit-def: $vgpr0
	s_mov_b32 s0, exec_lo
	v_cmpx_ne_u64_e32 0, v[66:67]
	s_xor_b32 s17, exec_lo, s0
	s_cbranch_execz .LBB2_436
; %bb.419:
	v_mov_b32_e32 v0, 0
	v_lshlrev_b32_e32 v4, 1, v43
	s_mov_b32 s2, 0
	s_mov_b32 s1, exec_lo
	v_cmpx_lt_i32_e32 0, v68
	s_cbranch_execz .LBB2_423
; %bb.420:
	scratch_load_b64 v[0:1], off, s33 offset:56
	v_mov_b32_e32 v2, v66
	v_lshlrev_b32_e64 v5, v4, 1
	v_dual_mov_b32 v6, v68 :: v_dual_mov_b32 v3, v67
	.p2align	6
.LBB2_421:                              ; =>This Inner Loop Header: Depth=1
	s_waitcnt vmcnt(0)
	flat_load_b32 v7, v[0:1]
	v_add_nc_u32_e32 v6, -1, v6
	v_add_co_u32 v0, vcc_lo, v0, 4
	v_add_co_ci_u32_e32 v1, vcc_lo, 0, v1, vcc_lo
	s_delay_alu instid0(VALU_DEP_3)
	v_cmp_eq_u32_e32 vcc_lo, 0, v6
	s_or_b32 s2, vcc_lo, s2
	s_waitcnt vmcnt(0) lgkmcnt(0)
	v_or_b32_e32 v7, v7, v5
	flat_store_b32 v[2:3], v7
	v_add_co_u32 v2, s0, v2, 4
	s_delay_alu instid0(VALU_DEP_1)
	v_add_co_ci_u32_e64 v3, s0, 0, v3, s0
	s_and_not1_b32 exec_lo, exec_lo, s2
	s_cbranch_execnz .LBB2_421
; %bb.422:
	s_or_b32 exec_lo, exec_lo, s2
	v_mov_b32_e32 v0, v68
.LBB2_423:
	s_or_b32 exec_lo, exec_lo, s1
	s_mov_b32 s2, 0
	s_mov_b32 s1, exec_lo
	v_cmpx_lt_i32_e32 0, v65
	s_cbranch_execz .LBB2_427
; %bb.424:
	scratch_load_b64 v[2:3], off, s33 offset:72
	v_mov_b32_e32 v1, 0
	s_delay_alu instid0(VALU_DEP_1) | instskip(SKIP_2) | instid1(VALU_DEP_3)
	v_lshlrev_b64 v[5:6], 2, v[0:1]
	v_add_nc_u32_e32 v0, v65, v0
	v_lshlrev_b32_e64 v1, v4, 2
	v_add_co_u32 v4, vcc_lo, v66, v5
	s_delay_alu instid0(VALU_DEP_4)
	v_add_co_ci_u32_e32 v5, vcc_lo, v67, v6, vcc_lo
	.p2align	6
.LBB2_425:                              ; =>This Inner Loop Header: Depth=1
	s_waitcnt vmcnt(0)
	flat_load_b32 v6, v[2:3]
	v_add_nc_u32_e32 v65, -1, v65
	v_add_co_u32 v2, vcc_lo, v2, 4
	v_add_co_ci_u32_e32 v3, vcc_lo, 0, v3, vcc_lo
	s_delay_alu instid0(VALU_DEP_3)
	v_cmp_eq_u32_e32 vcc_lo, 0, v65
	s_or_b32 s2, vcc_lo, s2
	s_waitcnt vmcnt(0) lgkmcnt(0)
	v_or_b32_e32 v6, v6, v1
	flat_store_b32 v[4:5], v6
	v_add_co_u32 v4, s0, v4, 4
	s_delay_alu instid0(VALU_DEP_1)
	v_add_co_ci_u32_e64 v5, s0, 0, v5, s0
	s_and_not1_b32 exec_lo, exec_lo, s2
	s_cbranch_execnz .LBB2_425
; %bb.426:
	s_or_b32 exec_lo, exec_lo, s2
.LBB2_427:
	s_delay_alu instid0(SALU_CYCLE_1)
	s_or_b32 exec_lo, exec_lo, s1
	s_mov_b32 s2, 0
	s_mov_b32 s1, exec_lo
	v_cmpx_lt_i32_e32 0, v55
	s_cbranch_execz .LBB2_431
; %bb.428:
	scratch_load_b64 v[2:3], off, s33 offset:88
	v_mov_b32_e32 v1, 0
	s_delay_alu instid0(VALU_DEP_1) | instskip(SKIP_1) | instid1(VALU_DEP_2)
	v_lshlrev_b64 v[4:5], 2, v[0:1]
	v_add_nc_u32_e32 v0, v0, v55
	v_add_co_u32 v4, vcc_lo, v66, v4
	s_delay_alu instid0(VALU_DEP_3)
	v_add_co_ci_u32_e32 v5, vcc_lo, v67, v5, vcc_lo
.LBB2_429:                              ; =>This Inner Loop Header: Depth=1
	s_waitcnt vmcnt(0)
	flat_load_b32 v1, v[2:3]
	v_add_nc_u32_e32 v55, -1, v55
	v_add_co_u32 v2, vcc_lo, v2, 4
	v_add_co_ci_u32_e32 v3, vcc_lo, 0, v3, vcc_lo
	s_delay_alu instid0(VALU_DEP_3) | instskip(SKIP_4) | instid1(VALU_DEP_1)
	v_cmp_eq_u32_e32 vcc_lo, 0, v55
	s_or_b32 s2, vcc_lo, s2
	s_waitcnt vmcnt(0) lgkmcnt(0)
	flat_store_b32 v[4:5], v1
	v_add_co_u32 v4, s0, v4, 4
	v_add_co_ci_u32_e64 v5, s0, 0, v5, s0
	s_and_not1_b32 exec_lo, exec_lo, s2
	s_cbranch_execnz .LBB2_429
; %bb.430:
	s_or_b32 exec_lo, exec_lo, s2
.LBB2_431:
	s_delay_alu instid0(SALU_CYCLE_1)
	s_or_b32 exec_lo, exec_lo, s1
	flat_load_b32 v1, v[41:42] offset:4
	s_mov_b32 s0, s20
	s_mov_b32 s1, exec_lo
	s_waitcnt vmcnt(0) lgkmcnt(0)
	v_cmpx_ne_u32_e64 v0, v1
	s_xor_b32 s19, exec_lo, s1
	s_cbranch_execz .LBB2_433
; %bb.432:
	s_getpc_b64 s[0:1]
	s_add_u32 s0, s0, .str.23@rel32@lo+4
	s_addc_u32 s1, s1, .str.23@rel32@hi+12
	s_getpc_b64 s[2:3]
	s_add_u32 s2, s2, .str.16@rel32@lo+4
	s_addc_u32 s3, s3, .str.16@rel32@hi+12
	s_getpc_b64 s[4:5]
	s_add_u32 s4, s4, __PRETTY_FUNCTION__._ZN3sop14minatoIsop5RecEjjiPNS_3SopEP7VecsMemIjLi8192EE@rel32@lo+4
	s_addc_u32 s5, s5, __PRETTY_FUNCTION__._ZN3sop14minatoIsop5RecEjjiPNS_3SopEP7VecsMemIjLi8192EE@rel32@hi+12
	v_dual_mov_b32 v0, s0 :: v_dual_mov_b32 v1, s1
	v_dual_mov_b32 v2, s2 :: v_dual_mov_b32 v3, s3
	;; [unrolled: 1-line block ×3, first 2 shown]
	v_mov_b32_e32 v6, s5
	s_mov_b64 s[8:9], s[34:35]
	s_getpc_b64 s[6:7]
	s_add_u32 s6, s6, __assert_fail@rel32@lo+4
	s_addc_u32 s7, s7, __assert_fail@rel32@hi+12
	s_delay_alu instid0(SALU_CYCLE_1)
	s_swappc_b64 s[30:31], s[6:7]
	s_or_b32 s0, s20, exec_lo
                                        ; implicit-def: $vgpr43
                                        ; implicit-def: $vgpr46
                                        ; implicit-def: $vgpr47
                                        ; implicit-def: $vgpr53
.LBB2_433:
	s_or_saveexec_b32 s1, s19
	s_mov_b32 s2, 0
                                        ; implicit-def: $vgpr0
	s_xor_b32 exec_lo, exec_lo, s1
	s_cbranch_execz .LBB2_435
; %bb.434:
	v_ashrrev_i32_e32 v44, 31, v43
	s_getpc_b64 s[4:5]
	s_add_u32 s4, s4, __const._ZN3sop14minatoIsop5RecEjjiPNS_3SopEP7VecsMemIjLi8192EE.uMasks@rel32@lo+4
	s_addc_u32 s5, s5, __const._ZN3sop14minatoIsop5RecEjjiPNS_3SopEP7VecsMemIjLi8192EE.uMasks@rel32@hi+12
	s_mov_b32 s2, exec_lo
	v_lshlrev_b64 v[0:1], 2, v[43:44]
	s_delay_alu instid0(VALU_DEP_1) | instskip(NEXT) | instid1(VALU_DEP_2)
	v_add_co_u32 v0, vcc_lo, v0, s4
	v_add_co_ci_u32_e32 v1, vcc_lo, s5, v1, vcc_lo
	global_load_b32 v0, v[0:1], off
	s_waitcnt vmcnt(0)
	v_not_b32_e32 v1, v0
	v_and_b32_e32 v0, v0, v47
	s_delay_alu instid0(VALU_DEP_2) | instskip(NEXT) | instid1(VALU_DEP_1)
	v_and_b32_e32 v1, v46, v1
	v_or3_b32 v0, v0, v53, v1
.LBB2_435:
	s_or_b32 exec_lo, exec_lo, s1
	s_delay_alu instid0(SALU_CYCLE_1)
	s_and_not1_b32 s1, s20, exec_lo
	s_and_b32 s0, s0, exec_lo
	s_and_b32 s19, s2, exec_lo
	s_or_b32 s21, s1, s0
.LBB2_436:
	s_and_not1_saveexec_b32 s17, s17
	s_cbranch_execz .LBB2_438
; %bb.437:
	s_getpc_b64 s[0:1]
	s_add_u32 s0, s0, .str.20@rel32@lo+4
	s_addc_u32 s1, s1, .str.20@rel32@hi+12
	s_getpc_b64 s[2:3]
	s_add_u32 s2, s2, .str.16@rel32@lo+4
	s_addc_u32 s3, s3, .str.16@rel32@hi+12
	s_getpc_b64 s[4:5]
	s_add_u32 s4, s4, __PRETTY_FUNCTION__._ZN3sop14minatoIsop5RecEjjiPNS_3SopEP7VecsMemIjLi8192EE@rel32@lo+4
	s_addc_u32 s5, s5, __PRETTY_FUNCTION__._ZN3sop14minatoIsop5RecEjjiPNS_3SopEP7VecsMemIjLi8192EE@rel32@hi+12
	v_dual_mov_b32 v0, s0 :: v_dual_mov_b32 v1, s1
	v_dual_mov_b32 v2, s2 :: v_dual_mov_b32 v3, s3
	;; [unrolled: 1-line block ×3, first 2 shown]
	v_mov_b32_e32 v6, s5
	s_mov_b64 s[8:9], s[34:35]
	s_getpc_b64 s[6:7]
	s_add_u32 s6, s6, __assert_fail@rel32@lo+4
	s_addc_u32 s7, s7, __assert_fail@rel32@hi+12
	s_delay_alu instid0(SALU_CYCLE_1)
	s_swappc_b64 s[30:31], s[6:7]
	s_or_b32 s21, s21, exec_lo
                                        ; implicit-def: $vgpr0
.LBB2_438:
	s_or_b32 exec_lo, exec_lo, s17
	s_delay_alu instid0(SALU_CYCLE_1)
	s_and_not1_b32 s0, s20, exec_lo
	s_and_b32 s1, s21, exec_lo
	s_and_b32 s17, s19, exec_lo
	s_or_b32 s20, s0, s1
.LBB2_439:
	s_or_b32 exec_lo, exec_lo, s18
	s_delay_alu instid0(SALU_CYCLE_1)
	s_and_not1_b32 s0, s41, exec_lo
	s_and_b32 s1, s20, exec_lo
	s_and_b32 s18, s17, exec_lo
	s_or_b32 s41, s0, s1
	s_or_b32 exec_lo, exec_lo, s42
	s_and_saveexec_b32 s0, s40
	s_delay_alu instid0(SALU_CYCLE_1)
	s_xor_b32 s17, exec_lo, s0
	s_cbranch_execnz .LBB2_120
	s_branch .LBB2_121
.Lfunc_end2:
	.size	_ZN3sop14minatoIsop5RecEjjiPNS_3SopEP7VecsMemIjLi8192EE, .Lfunc_end2-_ZN3sop14minatoIsop5RecEjjiPNS_3SopEP7VecsMemIjLi8192EE
                                        ; -- End function
	.section	.AMDGPU.csdata,"",@progbits
; Function info:
; codeLenInByte = 15888
; NumSgprs: 50
; NumVgprs: 69
; ScratchSize: 176
; MemoryBound: 0
	.text
	.p2align	2                               ; -- Begin function _ZN3sop13minatoIsopRecEPKjS1_iPNS_3SopEP7VecsMemIjLi8192EE
	.type	_ZN3sop13minatoIsopRecEPKjS1_iPNS_3SopEP7VecsMemIjLi8192EE,@function
_ZN3sop13minatoIsopRecEPKjS1_iPNS_3SopEP7VecsMemIjLi8192EE: ; @_ZN3sop13minatoIsopRecEPKjS1_iPNS_3SopEP7VecsMemIjLi8192EE
; %bb.0:
	s_waitcnt vmcnt(0) expcnt(0) lgkmcnt(0)
	s_mov_b32 s0, s33
	s_mov_b32 s33, s32
	s_or_saveexec_b32 s1, -1
	scratch_store_b32 off, v79, s33 offset:144 ; 4-byte Folded Spill
	s_mov_b32 exec_lo, s1
	v_writelane_b32 v79, s0, 28
	s_addk_i32 s32, 0xa0
	s_clause 0x16
	scratch_store_b32 off, v40, s33 offset:88
	; meta instruction
	scratch_store_b32 off, v41, s33 offset:84
	; meta instruction
	;; [unrolled: 2-line block ×22, first 2 shown]
	scratch_store_b32 off, v78, s33
	v_writelane_b32 v79, s34, 0
	v_writelane_b32 v79, s35, 1
	;; [unrolled: 1-line block ×28, first 2 shown]
	v_dual_mov_b32 v59, v1 :: v_dual_mov_b32 v58, v0
	v_dual_mov_b32 v41, 0 :: v_dual_add_nc_u32 v0, -5, v4
	v_cmp_lt_i32_e32 vcc_lo, 5, v4
	v_dual_mov_b32 v44, v8 :: v_dual_mov_b32 v43, v7
	s_delay_alu instid0(VALU_DEP_3) | instskip(SKIP_2) | instid1(VALU_DEP_3)
	v_lshlrev_b32_e64 v0, v0, 1
	v_dual_mov_b32 v46, v6 :: v_dual_mov_b32 v45, v5
	v_dual_mov_b32 v57, v3 :: v_dual_mov_b32 v56, v2
	v_dual_cndmask_b32 v73, 1, v0 :: v_dual_mov_b32 v42, 0
	s_mov_b32 s43, 0
	s_mov_b32 s0, -1
	s_mov_b32 s17, exec_lo
	s_delay_alu instid0(VALU_DEP_1)
	v_cmpx_lt_i32_e32 0, v73
	s_cbranch_execnz .LBB3_5
; %bb.1:
	s_or_b32 exec_lo, exec_lo, s17
	s_and_saveexec_b32 s50, s0
	s_cbranch_execnz .LBB3_143
.LBB3_2:
	s_or_b32 exec_lo, exec_lo, s50
	s_and_saveexec_b32 s0, s43
.LBB3_3:
	; divergent unreachable
.LBB3_4:
	s_delay_alu instid0(SALU_CYCLE_1)
	s_or_b32 exec_lo, exec_lo, s0
	v_dual_mov_b32 v0, v41 :: v_dual_mov_b32 v1, v42
	s_clause 0x16
	scratch_load_b32 v78, off, s33
	scratch_load_b32 v77, off, s33 offset:4
	scratch_load_b32 v76, off, s33 offset:8
	;; [unrolled: 1-line block ×22, first 2 shown]
	v_readlane_b32 s30, v79, 26
	v_readlane_b32 s31, v79, 27
	;; [unrolled: 1-line block ×29, first 2 shown]
	s_or_saveexec_b32 s1, -1
	scratch_load_b32 v79, off, s33 offset:144 ; 4-byte Folded Reload
	s_mov_b32 exec_lo, s1
	s_addk_i32 s32, 0xff60
	s_mov_b32 s33, s0
	s_waitcnt vmcnt(0) lgkmcnt(0)
	s_setpc_b64 s[30:31]
.LBB3_5:
	flat_load_b32 v0, v[43:44]
	s_mov_b32 s0, 0
	s_mov_b32 s20, 0
	s_mov_b32 s1, exec_lo
	v_mov_b32_e32 v41, 0
	v_mov_b32_e32 v42, 0
	s_waitcnt vmcnt(0) lgkmcnt(0)
	v_add_nc_u32_e32 v0, v0, v73
	s_delay_alu instid0(VALU_DEP_1)
	v_cmpx_gt_i32_e32 0x2001, v0
	s_xor_b32 s1, exec_lo, s1
	s_cbranch_execz .LBB3_7
; %bb.6:
	v_ashrrev_i32_e32 v1, 31, v0
	v_mov_b32_e32 v74, 0
	s_mov_b32 s20, exec_lo
	flat_store_b32 v[43:44], v0
	v_lshlrev_b64 v[1:2], 2, v[0:1]
	v_lshlrev_b64 v[5:6], 2, v[73:74]
	s_delay_alu instid0(VALU_DEP_2) | instskip(NEXT) | instid1(VALU_DEP_3)
	v_add_co_u32 v1, vcc_lo, v43, v1
	v_add_co_ci_u32_e32 v2, vcc_lo, v44, v2, vcc_lo
	s_delay_alu instid0(VALU_DEP_2) | instskip(NEXT) | instid1(VALU_DEP_2)
	v_sub_co_u32 v1, vcc_lo, v1, v5
	v_sub_co_ci_u32_e32 v2, vcc_lo, v2, v6, vcc_lo
	s_delay_alu instid0(VALU_DEP_2) | instskip(NEXT) | instid1(VALU_DEP_2)
	v_add_co_u32 v41, vcc_lo, v1, 4
	v_add_co_ci_u32_e32 v42, vcc_lo, 0, v2, vcc_lo
.LBB3_7:
	s_and_not1_saveexec_b32 s21, s1
	s_cbranch_execz .LBB3_142
; %bb.8:
	s_load_b64 s[2:3], s[8:9], 0x50
	v_mbcnt_lo_u32_b32 v30, -1, 0
	v_mov_b32_e32 v7, 0
	v_mov_b32_e32 v8, 0
	s_delay_alu instid0(VALU_DEP_3) | instskip(NEXT) | instid1(VALU_DEP_1)
	v_readfirstlane_b32 s0, v30
	v_cmp_eq_u32_e64 s0, s0, v30
	s_delay_alu instid0(VALU_DEP_1)
	s_and_saveexec_b32 s1, s0
	s_cbranch_execz .LBB3_14
; %bb.9:
	v_mov_b32_e32 v0, 0
	s_mov_b32 s4, exec_lo
	s_waitcnt lgkmcnt(0)
	global_load_b64 v[9:10], v0, s[2:3] offset:24 glc
	s_waitcnt vmcnt(0)
	buffer_gl1_inv
	buffer_gl0_inv
	s_clause 0x1
	global_load_b64 v[1:2], v0, s[2:3] offset:40
	global_load_b64 v[5:6], v0, s[2:3]
	s_waitcnt vmcnt(1)
	v_and_b32_e32 v1, v1, v9
	v_and_b32_e32 v2, v2, v10
	s_delay_alu instid0(VALU_DEP_2) | instskip(NEXT) | instid1(VALU_DEP_2)
	v_mul_hi_u32 v3, v1, 24
	v_mul_lo_u32 v2, v2, 24
	v_mul_lo_u32 v1, v1, 24
	s_delay_alu instid0(VALU_DEP_2) | instskip(SKIP_1) | instid1(VALU_DEP_2)
	v_add_nc_u32_e32 v2, v3, v2
	s_waitcnt vmcnt(0)
	v_add_co_u32 v1, vcc_lo, v5, v1
	s_delay_alu instid0(VALU_DEP_2)
	v_add_co_ci_u32_e32 v2, vcc_lo, v6, v2, vcc_lo
	global_load_b64 v[7:8], v[1:2], off glc
	s_waitcnt vmcnt(0)
	global_atomic_cmpswap_b64 v[7:8], v0, v[7:10], s[2:3] offset:24 glc
	s_waitcnt vmcnt(0)
	buffer_gl1_inv
	buffer_gl0_inv
	v_cmpx_ne_u64_e64 v[7:8], v[9:10]
	s_cbranch_execz .LBB3_13
; %bb.10:
	s_mov_b32 s5, 0
	.p2align	6
.LBB3_11:                               ; =>This Inner Loop Header: Depth=1
	s_sleep 1
	s_clause 0x1
	global_load_b64 v[1:2], v0, s[2:3] offset:40
	global_load_b64 v[5:6], v0, s[2:3]
	v_dual_mov_b32 v10, v8 :: v_dual_mov_b32 v9, v7
	s_waitcnt vmcnt(1)
	s_delay_alu instid0(VALU_DEP_1) | instskip(SKIP_1) | instid1(VALU_DEP_1)
	v_and_b32_e32 v1, v1, v9
	s_waitcnt vmcnt(0)
	v_mad_u64_u32 v[7:8], null, v1, 24, v[5:6]
	v_and_b32_e32 v5, v2, v10
	s_delay_alu instid0(VALU_DEP_2) | instskip(NEXT) | instid1(VALU_DEP_1)
	v_mov_b32_e32 v1, v8
	v_mad_u64_u32 v[2:3], null, v5, 24, v[1:2]
	s_delay_alu instid0(VALU_DEP_1)
	v_mov_b32_e32 v8, v2
	global_load_b64 v[7:8], v[7:8], off glc
	s_waitcnt vmcnt(0)
	global_atomic_cmpswap_b64 v[7:8], v0, v[7:10], s[2:3] offset:24 glc
	s_waitcnt vmcnt(0)
	buffer_gl1_inv
	buffer_gl0_inv
	v_cmp_eq_u64_e32 vcc_lo, v[7:8], v[9:10]
	s_or_b32 s5, vcc_lo, s5
	s_delay_alu instid0(SALU_CYCLE_1)
	s_and_not1_b32 exec_lo, exec_lo, s5
	s_cbranch_execnz .LBB3_11
; %bb.12:
	s_or_b32 exec_lo, exec_lo, s5
.LBB3_13:
	s_delay_alu instid0(SALU_CYCLE_1)
	s_or_b32 exec_lo, exec_lo, s4
.LBB3_14:
	s_delay_alu instid0(SALU_CYCLE_1)
	s_or_b32 exec_lo, exec_lo, s1
	v_mov_b32_e32 v6, 0
	v_readfirstlane_b32 s4, v7
	v_readfirstlane_b32 s5, v8
	s_mov_b32 s1, exec_lo
	s_waitcnt lgkmcnt(0)
	s_clause 0x1
	global_load_b64 v[9:10], v6, s[2:3] offset:40
	global_load_b128 v[0:3], v6, s[2:3]
	s_waitcnt vmcnt(1)
	v_readfirstlane_b32 s6, v9
	v_readfirstlane_b32 s7, v10
	s_delay_alu instid0(VALU_DEP_1) | instskip(NEXT) | instid1(SALU_CYCLE_1)
	s_and_b64 s[6:7], s[4:5], s[6:7]
	s_mul_i32 s10, s7, 24
	s_mul_hi_u32 s11, s6, 24
	s_mul_i32 s12, s6, 24
	s_add_i32 s11, s11, s10
	s_waitcnt vmcnt(0)
	v_add_co_u32 v9, vcc_lo, v0, s12
	v_add_co_ci_u32_e32 v10, vcc_lo, s11, v1, vcc_lo
	s_and_saveexec_b32 s10, s0
	s_cbranch_execz .LBB3_16
; %bb.15:
	v_dual_mov_b32 v5, s1 :: v_dual_mov_b32 v8, 1
	v_mov_b32_e32 v7, 2
	global_store_b128 v[9:10], v[5:8], off offset:8
.LBB3_16:
	s_or_b32 exec_lo, exec_lo, s10
	s_lshl_b64 s[6:7], s[6:7], 12
	v_dual_mov_b32 v8, v6 :: v_dual_lshlrev_b32 v29, 6, v30
	v_add_co_u32 v2, vcc_lo, v2, s6
	v_add_co_ci_u32_e32 v3, vcc_lo, s7, v3, vcc_lo
	s_mov_b32 s12, 0
	s_delay_alu instid0(VALU_DEP_2)
	v_add_co_u32 v11, vcc_lo, v2, v29
	s_mov_b32 s15, s12
	s_mov_b32 s13, s12
	;; [unrolled: 1-line block ×3, first 2 shown]
	v_dual_mov_b32 v5, 33 :: v_dual_mov_b32 v16, s15
	v_dual_mov_b32 v7, v6 :: v_dual_mov_b32 v14, s13
	v_readfirstlane_b32 s6, v2
	v_readfirstlane_b32 s7, v3
	v_add_co_ci_u32_e32 v12, vcc_lo, 0, v3, vcc_lo
	v_mov_b32_e32 v15, s14
	v_mov_b32_e32 v13, s12
	s_clause 0x3
	global_store_b128 v29, v[5:8], s[6:7]
	global_store_b128 v29, v[13:16], s[6:7] offset:16
	global_store_b128 v29, v[13:16], s[6:7] offset:32
	;; [unrolled: 1-line block ×3, first 2 shown]
	s_and_saveexec_b32 s1, s0
	s_cbranch_execz .LBB3_24
; %bb.17:
	v_mov_b32_e32 v7, 0
	v_mov_b32_e32 v13, s4
	s_mov_b32 s6, exec_lo
	s_clause 0x1
	global_load_b64 v[15:16], v7, s[2:3] offset:32 glc
	global_load_b64 v[2:3], v7, s[2:3] offset:40
	v_mov_b32_e32 v14, s5
	s_waitcnt vmcnt(0)
	v_and_b32_e32 v2, s4, v2
	v_and_b32_e32 v3, s5, v3
	s_delay_alu instid0(VALU_DEP_2) | instskip(NEXT) | instid1(VALU_DEP_2)
	v_mul_hi_u32 v5, v2, 24
	v_mul_lo_u32 v3, v3, 24
	v_mul_lo_u32 v2, v2, 24
	s_delay_alu instid0(VALU_DEP_2) | instskip(NEXT) | instid1(VALU_DEP_2)
	v_add_nc_u32_e32 v3, v5, v3
	v_add_co_u32 v5, vcc_lo, v0, v2
	s_delay_alu instid0(VALU_DEP_2)
	v_add_co_ci_u32_e32 v6, vcc_lo, v1, v3, vcc_lo
	global_store_b64 v[5:6], v[15:16], off
	s_waitcnt_vscnt null, 0x0
	global_atomic_cmpswap_b64 v[2:3], v7, v[13:16], s[2:3] offset:32 glc
	s_waitcnt vmcnt(0)
	v_cmpx_ne_u64_e64 v[2:3], v[15:16]
	s_cbranch_execz .LBB3_20
; %bb.18:
	s_mov_b32 s7, 0
.LBB3_19:                               ; =>This Inner Loop Header: Depth=1
	v_dual_mov_b32 v0, s4 :: v_dual_mov_b32 v1, s5
	s_sleep 1
	global_store_b64 v[5:6], v[2:3], off
	s_waitcnt_vscnt null, 0x0
	global_atomic_cmpswap_b64 v[0:1], v7, v[0:3], s[2:3] offset:32 glc
	s_waitcnt vmcnt(0)
	v_cmp_eq_u64_e32 vcc_lo, v[0:1], v[2:3]
	v_dual_mov_b32 v3, v1 :: v_dual_mov_b32 v2, v0
	s_or_b32 s7, vcc_lo, s7
	s_delay_alu instid0(SALU_CYCLE_1)
	s_and_not1_b32 exec_lo, exec_lo, s7
	s_cbranch_execnz .LBB3_19
.LBB3_20:
	s_or_b32 exec_lo, exec_lo, s6
	v_mov_b32_e32 v3, 0
	s_mov_b32 s7, exec_lo
	s_mov_b32 s6, exec_lo
	v_mbcnt_lo_u32_b32 v2, s7, 0
	global_load_b64 v[0:1], v3, s[2:3] offset:16
	v_cmpx_eq_u32_e32 0, v2
	s_cbranch_execz .LBB3_22
; %bb.21:
	s_bcnt1_i32_b32 s7, s7
	s_delay_alu instid0(SALU_CYCLE_1)
	v_mov_b32_e32 v2, s7
	s_waitcnt vmcnt(0)
	global_atomic_add_u64 v[0:1], v[2:3], off offset:8
.LBB3_22:
	s_or_b32 exec_lo, exec_lo, s6
	s_waitcnt vmcnt(0)
	global_load_b64 v[2:3], v[0:1], off offset:16
	s_waitcnt vmcnt(0)
	v_cmp_eq_u64_e32 vcc_lo, 0, v[2:3]
	s_cbranch_vccnz .LBB3_24
; %bb.23:
	global_load_b32 v0, v[0:1], off offset:24
	v_mov_b32_e32 v1, 0
	s_waitcnt vmcnt(0)
	v_and_b32_e32 v5, 0xffffff, v0
	s_waitcnt_vscnt null, 0x0
	global_store_b64 v[2:3], v[0:1], off
	v_readfirstlane_b32 m0, v5
	s_sendmsg sendmsg(MSG_INTERRUPT)
.LBB3_24:
	s_or_b32 exec_lo, exec_lo, s1
	s_branch .LBB3_28
	.p2align	6
.LBB3_25:                               ;   in Loop: Header=BB3_28 Depth=1
	s_or_b32 exec_lo, exec_lo, s1
	s_delay_alu instid0(VALU_DEP_1) | instskip(NEXT) | instid1(VALU_DEP_1)
	v_readfirstlane_b32 s1, v0
	s_cmp_eq_u32 s1, 0
	s_cbranch_scc1 .LBB3_27
; %bb.26:                               ;   in Loop: Header=BB3_28 Depth=1
	s_sleep 1
	s_cbranch_execnz .LBB3_28
	s_branch .LBB3_30
	.p2align	6
.LBB3_27:
	s_branch .LBB3_30
.LBB3_28:                               ; =>This Inner Loop Header: Depth=1
	v_mov_b32_e32 v0, 1
	s_and_saveexec_b32 s1, s0
	s_cbranch_execz .LBB3_25
; %bb.29:                               ;   in Loop: Header=BB3_28 Depth=1
	global_load_b32 v0, v[9:10], off offset:20 glc
	s_waitcnt vmcnt(0)
	buffer_gl1_inv
	buffer_gl0_inv
	v_and_b32_e32 v0, 1, v0
	s_branch .LBB3_25
.LBB3_30:
	global_load_b64 v[0:1], v[11:12], off
	s_and_saveexec_b32 s1, s0
	s_cbranch_execz .LBB3_34
; %bb.31:
	v_mov_b32_e32 v9, 0
	s_clause 0x2
	global_load_b64 v[2:3], v9, s[2:3] offset:40
	global_load_b64 v[10:11], v9, s[2:3] offset:24 glc
	global_load_b64 v[7:8], v9, s[2:3]
	s_waitcnt vmcnt(2)
	v_add_co_u32 v12, vcc_lo, v2, 1
	v_add_co_ci_u32_e32 v13, vcc_lo, 0, v3, vcc_lo
	s_delay_alu instid0(VALU_DEP_2) | instskip(NEXT) | instid1(VALU_DEP_2)
	v_add_co_u32 v5, vcc_lo, v12, s4
	v_add_co_ci_u32_e32 v6, vcc_lo, s5, v13, vcc_lo
	s_delay_alu instid0(VALU_DEP_1) | instskip(SKIP_1) | instid1(VALU_DEP_1)
	v_cmp_eq_u64_e32 vcc_lo, 0, v[5:6]
	v_dual_cndmask_b32 v6, v6, v13 :: v_dual_cndmask_b32 v5, v5, v12
	v_and_b32_e32 v3, v6, v3
	s_delay_alu instid0(VALU_DEP_2) | instskip(NEXT) | instid1(VALU_DEP_2)
	v_and_b32_e32 v2, v5, v2
	v_mul_lo_u32 v3, v3, 24
	s_delay_alu instid0(VALU_DEP_2) | instskip(SKIP_1) | instid1(VALU_DEP_2)
	v_mul_hi_u32 v12, v2, 24
	v_mul_lo_u32 v2, v2, 24
	v_add_nc_u32_e32 v3, v12, v3
	s_waitcnt vmcnt(0)
	s_delay_alu instid0(VALU_DEP_2) | instskip(SKIP_1) | instid1(VALU_DEP_3)
	v_add_co_u32 v2, vcc_lo, v7, v2
	v_mov_b32_e32 v7, v10
	v_add_co_ci_u32_e32 v3, vcc_lo, v8, v3, vcc_lo
	v_mov_b32_e32 v8, v11
	global_store_b64 v[2:3], v[10:11], off
	s_waitcnt_vscnt null, 0x0
	global_atomic_cmpswap_b64 v[7:8], v9, v[5:8], s[2:3] offset:24 glc
	s_waitcnt vmcnt(0)
	v_cmp_ne_u64_e32 vcc_lo, v[7:8], v[10:11]
	s_and_b32 exec_lo, exec_lo, vcc_lo
	s_cbranch_execz .LBB3_34
; %bb.32:
	s_mov_b32 s0, 0
.LBB3_33:                               ; =>This Inner Loop Header: Depth=1
	s_sleep 1
	global_store_b64 v[2:3], v[7:8], off
	s_waitcnt_vscnt null, 0x0
	global_atomic_cmpswap_b64 v[10:11], v9, v[5:8], s[2:3] offset:24 glc
	s_waitcnt vmcnt(0)
	v_cmp_eq_u64_e32 vcc_lo, v[10:11], v[7:8]
	v_dual_mov_b32 v7, v10 :: v_dual_mov_b32 v8, v11
	s_or_b32 s0, vcc_lo, s0
	s_delay_alu instid0(SALU_CYCLE_1)
	s_and_not1_b32 exec_lo, exec_lo, s0
	s_cbranch_execnz .LBB3_33
.LBB3_34:
	s_or_b32 exec_lo, exec_lo, s1
	s_getpc_b64 s[4:5]
	s_add_u32 s4, s4, .str.28@rel32@lo+4
	s_addc_u32 s5, s5, .str.28@rel32@hi+12
	s_delay_alu instid0(SALU_CYCLE_1)
	s_cmp_lg_u64 s[4:5], 0
	s_cbranch_scc0 .LBB3_113
; %bb.35:
	s_waitcnt vmcnt(0)
	v_dual_mov_b32 v10, v1 :: v_dual_and_b32 v9, -3, v0
	v_dual_mov_b32 v6, 0 :: v_dual_mov_b32 v7, 2
	v_mov_b32_e32 v8, 1
	s_mov_b64 s[6:7], 35
	s_branch .LBB3_37
.LBB3_36:                               ;   in Loop: Header=BB3_37 Depth=1
	s_or_b32 exec_lo, exec_lo, s1
	s_sub_u32 s6, s6, s10
	s_subb_u32 s7, s7, s11
	s_add_u32 s4, s4, s10
	s_addc_u32 s5, s5, s11
	s_cmp_lg_u64 s[6:7], 0
	s_cbranch_scc0 .LBB3_112
.LBB3_37:                               ; =>This Loop Header: Depth=1
                                        ;     Child Loop BB3_46 Depth 2
                                        ;     Child Loop BB3_42 Depth 2
	;; [unrolled: 1-line block ×11, first 2 shown]
	v_cmp_lt_u64_e64 s0, s[6:7], 56
	v_cmp_gt_u64_e64 s1, s[6:7], 7
                                        ; implicit-def: $sgpr16
	s_delay_alu instid0(VALU_DEP_2) | instskip(SKIP_2) | instid1(VALU_DEP_1)
	s_and_b32 s0, s0, exec_lo
	s_cselect_b32 s11, s7, 0
	s_cselect_b32 s10, s6, 56
	s_and_b32 vcc_lo, exec_lo, s1
	s_mov_b32 s0, -1
	s_cbranch_vccz .LBB3_44
; %bb.38:                               ;   in Loop: Header=BB3_37 Depth=1
	s_and_not1_b32 vcc_lo, exec_lo, s0
	s_mov_b64 s[0:1], s[4:5]
	s_cbranch_vccz .LBB3_48
.LBB3_39:                               ;   in Loop: Header=BB3_37 Depth=1
	s_cmp_gt_u32 s16, 7
	s_cbranch_scc1 .LBB3_49
.LBB3_40:                               ;   in Loop: Header=BB3_37 Depth=1
	v_mov_b32_e32 v13, 0
	v_mov_b32_e32 v14, 0
	s_cmp_eq_u32 s16, 0
	s_cbranch_scc1 .LBB3_43
; %bb.41:                               ;   in Loop: Header=BB3_37 Depth=1
	s_mov_b64 s[12:13], 0
	s_mov_b64 s[14:15], 0
.LBB3_42:                               ;   Parent Loop BB3_37 Depth=1
                                        ; =>  This Inner Loop Header: Depth=2
	s_delay_alu instid0(SALU_CYCLE_1)
	s_add_u32 s18, s0, s14
	s_addc_u32 s19, s1, s15
	s_add_u32 s14, s14, 1
	global_load_u8 v2, v6, s[18:19]
	s_addc_u32 s15, s15, 0
	s_waitcnt vmcnt(0)
	v_and_b32_e32 v5, 0xffff, v2
	s_delay_alu instid0(VALU_DEP_1) | instskip(SKIP_3) | instid1(VALU_DEP_1)
	v_lshlrev_b64 v[2:3], s12, v[5:6]
	s_add_u32 s12, s12, 8
	s_addc_u32 s13, s13, 0
	s_cmp_lg_u32 s16, s14
	v_or_b32_e32 v13, v2, v13
	s_delay_alu instid0(VALU_DEP_2)
	v_or_b32_e32 v14, v3, v14
	s_cbranch_scc1 .LBB3_42
.LBB3_43:                               ;   in Loop: Header=BB3_37 Depth=1
	s_mov_b32 s18, 0
	s_cbranch_execz .LBB3_50
	s_branch .LBB3_51
.LBB3_44:                               ;   in Loop: Header=BB3_37 Depth=1
	s_waitcnt vmcnt(0)
	v_mov_b32_e32 v11, 0
	v_mov_b32_e32 v12, 0
	s_cmp_eq_u64 s[6:7], 0
	s_mov_b64 s[0:1], 0
	s_cbranch_scc1 .LBB3_47
; %bb.45:                               ;   in Loop: Header=BB3_37 Depth=1
	v_mov_b32_e32 v11, 0
	v_mov_b32_e32 v12, 0
	s_lshl_b64 s[12:13], s[10:11], 3
	s_mov_b64 s[14:15], s[4:5]
.LBB3_46:                               ;   Parent Loop BB3_37 Depth=1
                                        ; =>  This Inner Loop Header: Depth=2
	global_load_u8 v2, v6, s[14:15]
	s_waitcnt vmcnt(0)
	v_and_b32_e32 v5, 0xffff, v2
	s_delay_alu instid0(VALU_DEP_1)
	v_lshlrev_b64 v[2:3], s0, v[5:6]
	s_add_u32 s0, s0, 8
	s_addc_u32 s1, s1, 0
	s_add_u32 s14, s14, 1
	s_addc_u32 s15, s15, 0
	s_cmp_lg_u32 s12, s0
	v_or_b32_e32 v11, v2, v11
	v_or_b32_e32 v12, v3, v12
	s_cbranch_scc1 .LBB3_46
.LBB3_47:                               ;   in Loop: Header=BB3_37 Depth=1
	s_mov_b32 s16, 0
	s_mov_b64 s[0:1], s[4:5]
	s_cbranch_execnz .LBB3_39
.LBB3_48:                               ;   in Loop: Header=BB3_37 Depth=1
	global_load_b64 v[11:12], v6, s[4:5]
	s_add_i32 s16, s10, -8
	s_add_u32 s0, s4, 8
	s_addc_u32 s1, s5, 0
	s_cmp_gt_u32 s16, 7
	s_cbranch_scc0 .LBB3_40
.LBB3_49:                               ;   in Loop: Header=BB3_37 Depth=1
                                        ; implicit-def: $vgpr13_vgpr14
                                        ; implicit-def: $sgpr18
.LBB3_50:                               ;   in Loop: Header=BB3_37 Depth=1
	global_load_b64 v[13:14], v6, s[0:1]
	s_add_i32 s18, s16, -8
	s_add_u32 s0, s0, 8
	s_addc_u32 s1, s1, 0
.LBB3_51:                               ;   in Loop: Header=BB3_37 Depth=1
	s_cmp_gt_u32 s18, 7
	s_cbranch_scc1 .LBB3_56
; %bb.52:                               ;   in Loop: Header=BB3_37 Depth=1
	v_mov_b32_e32 v15, 0
	v_mov_b32_e32 v16, 0
	s_cmp_eq_u32 s18, 0
	s_cbranch_scc1 .LBB3_55
; %bb.53:                               ;   in Loop: Header=BB3_37 Depth=1
	s_mov_b64 s[12:13], 0
	s_mov_b64 s[14:15], 0
.LBB3_54:                               ;   Parent Loop BB3_37 Depth=1
                                        ; =>  This Inner Loop Header: Depth=2
	s_delay_alu instid0(SALU_CYCLE_1)
	s_add_u32 s22, s0, s14
	s_addc_u32 s23, s1, s15
	s_add_u32 s14, s14, 1
	global_load_u8 v2, v6, s[22:23]
	s_addc_u32 s15, s15, 0
	s_waitcnt vmcnt(0)
	v_and_b32_e32 v5, 0xffff, v2
	s_delay_alu instid0(VALU_DEP_1) | instskip(SKIP_3) | instid1(VALU_DEP_1)
	v_lshlrev_b64 v[2:3], s12, v[5:6]
	s_add_u32 s12, s12, 8
	s_addc_u32 s13, s13, 0
	s_cmp_lg_u32 s18, s14
	v_or_b32_e32 v15, v2, v15
	s_delay_alu instid0(VALU_DEP_2)
	v_or_b32_e32 v16, v3, v16
	s_cbranch_scc1 .LBB3_54
.LBB3_55:                               ;   in Loop: Header=BB3_37 Depth=1
	s_mov_b32 s16, 0
	s_cbranch_execz .LBB3_57
	s_branch .LBB3_58
.LBB3_56:                               ;   in Loop: Header=BB3_37 Depth=1
                                        ; implicit-def: $sgpr16
.LBB3_57:                               ;   in Loop: Header=BB3_37 Depth=1
	global_load_b64 v[15:16], v6, s[0:1]
	s_add_i32 s16, s18, -8
	s_add_u32 s0, s0, 8
	s_addc_u32 s1, s1, 0
.LBB3_58:                               ;   in Loop: Header=BB3_37 Depth=1
	s_cmp_gt_u32 s16, 7
	s_cbranch_scc1 .LBB3_63
; %bb.59:                               ;   in Loop: Header=BB3_37 Depth=1
	v_mov_b32_e32 v17, 0
	v_mov_b32_e32 v18, 0
	s_cmp_eq_u32 s16, 0
	s_cbranch_scc1 .LBB3_62
; %bb.60:                               ;   in Loop: Header=BB3_37 Depth=1
	s_mov_b64 s[12:13], 0
	s_mov_b64 s[14:15], 0
.LBB3_61:                               ;   Parent Loop BB3_37 Depth=1
                                        ; =>  This Inner Loop Header: Depth=2
	s_delay_alu instid0(SALU_CYCLE_1)
	s_add_u32 s18, s0, s14
	s_addc_u32 s19, s1, s15
	s_add_u32 s14, s14, 1
	global_load_u8 v2, v6, s[18:19]
	s_addc_u32 s15, s15, 0
	s_waitcnt vmcnt(0)
	v_and_b32_e32 v5, 0xffff, v2
	s_delay_alu instid0(VALU_DEP_1) | instskip(SKIP_3) | instid1(VALU_DEP_1)
	v_lshlrev_b64 v[2:3], s12, v[5:6]
	s_add_u32 s12, s12, 8
	s_addc_u32 s13, s13, 0
	s_cmp_lg_u32 s16, s14
	v_or_b32_e32 v17, v2, v17
	s_delay_alu instid0(VALU_DEP_2)
	v_or_b32_e32 v18, v3, v18
	s_cbranch_scc1 .LBB3_61
.LBB3_62:                               ;   in Loop: Header=BB3_37 Depth=1
	s_mov_b32 s18, 0
	s_cbranch_execz .LBB3_64
	s_branch .LBB3_65
.LBB3_63:                               ;   in Loop: Header=BB3_37 Depth=1
                                        ; implicit-def: $vgpr17_vgpr18
                                        ; implicit-def: $sgpr18
.LBB3_64:                               ;   in Loop: Header=BB3_37 Depth=1
	global_load_b64 v[17:18], v6, s[0:1]
	s_add_i32 s18, s16, -8
	s_add_u32 s0, s0, 8
	s_addc_u32 s1, s1, 0
.LBB3_65:                               ;   in Loop: Header=BB3_37 Depth=1
	s_cmp_gt_u32 s18, 7
	s_cbranch_scc1 .LBB3_70
; %bb.66:                               ;   in Loop: Header=BB3_37 Depth=1
	v_mov_b32_e32 v19, 0
	v_mov_b32_e32 v20, 0
	s_cmp_eq_u32 s18, 0
	s_cbranch_scc1 .LBB3_69
; %bb.67:                               ;   in Loop: Header=BB3_37 Depth=1
	s_mov_b64 s[12:13], 0
	s_mov_b64 s[14:15], 0
.LBB3_68:                               ;   Parent Loop BB3_37 Depth=1
                                        ; =>  This Inner Loop Header: Depth=2
	s_delay_alu instid0(SALU_CYCLE_1)
	s_add_u32 s22, s0, s14
	s_addc_u32 s23, s1, s15
	s_add_u32 s14, s14, 1
	global_load_u8 v2, v6, s[22:23]
	s_addc_u32 s15, s15, 0
	s_waitcnt vmcnt(0)
	v_and_b32_e32 v5, 0xffff, v2
	s_delay_alu instid0(VALU_DEP_1) | instskip(SKIP_3) | instid1(VALU_DEP_1)
	v_lshlrev_b64 v[2:3], s12, v[5:6]
	s_add_u32 s12, s12, 8
	s_addc_u32 s13, s13, 0
	s_cmp_lg_u32 s18, s14
	v_or_b32_e32 v19, v2, v19
	s_delay_alu instid0(VALU_DEP_2)
	v_or_b32_e32 v20, v3, v20
	s_cbranch_scc1 .LBB3_68
.LBB3_69:                               ;   in Loop: Header=BB3_37 Depth=1
	s_mov_b32 s16, 0
	s_cbranch_execz .LBB3_71
	s_branch .LBB3_72
.LBB3_70:                               ;   in Loop: Header=BB3_37 Depth=1
                                        ; implicit-def: $sgpr16
.LBB3_71:                               ;   in Loop: Header=BB3_37 Depth=1
	global_load_b64 v[19:20], v6, s[0:1]
	s_add_i32 s16, s18, -8
	s_add_u32 s0, s0, 8
	s_addc_u32 s1, s1, 0
.LBB3_72:                               ;   in Loop: Header=BB3_37 Depth=1
	s_cmp_gt_u32 s16, 7
	s_cbranch_scc1 .LBB3_77
; %bb.73:                               ;   in Loop: Header=BB3_37 Depth=1
	v_mov_b32_e32 v21, 0
	v_mov_b32_e32 v22, 0
	s_cmp_eq_u32 s16, 0
	s_cbranch_scc1 .LBB3_76
; %bb.74:                               ;   in Loop: Header=BB3_37 Depth=1
	s_mov_b64 s[12:13], 0
	s_mov_b64 s[14:15], 0
.LBB3_75:                               ;   Parent Loop BB3_37 Depth=1
                                        ; =>  This Inner Loop Header: Depth=2
	s_delay_alu instid0(SALU_CYCLE_1)
	s_add_u32 s18, s0, s14
	s_addc_u32 s19, s1, s15
	s_add_u32 s14, s14, 1
	global_load_u8 v2, v6, s[18:19]
	s_addc_u32 s15, s15, 0
	s_waitcnt vmcnt(0)
	v_and_b32_e32 v5, 0xffff, v2
	s_delay_alu instid0(VALU_DEP_1) | instskip(SKIP_3) | instid1(VALU_DEP_1)
	v_lshlrev_b64 v[2:3], s12, v[5:6]
	s_add_u32 s12, s12, 8
	s_addc_u32 s13, s13, 0
	s_cmp_lg_u32 s16, s14
	v_or_b32_e32 v21, v2, v21
	s_delay_alu instid0(VALU_DEP_2)
	v_or_b32_e32 v22, v3, v22
	s_cbranch_scc1 .LBB3_75
.LBB3_76:                               ;   in Loop: Header=BB3_37 Depth=1
	s_mov_b32 s18, 0
	s_cbranch_execz .LBB3_78
	s_branch .LBB3_79
.LBB3_77:                               ;   in Loop: Header=BB3_37 Depth=1
                                        ; implicit-def: $vgpr21_vgpr22
                                        ; implicit-def: $sgpr18
.LBB3_78:                               ;   in Loop: Header=BB3_37 Depth=1
	global_load_b64 v[21:22], v6, s[0:1]
	s_add_i32 s18, s16, -8
	s_add_u32 s0, s0, 8
	s_addc_u32 s1, s1, 0
.LBB3_79:                               ;   in Loop: Header=BB3_37 Depth=1
	s_cmp_gt_u32 s18, 7
	s_cbranch_scc1 .LBB3_84
; %bb.80:                               ;   in Loop: Header=BB3_37 Depth=1
	v_mov_b32_e32 v23, 0
	v_mov_b32_e32 v24, 0
	s_cmp_eq_u32 s18, 0
	s_cbranch_scc1 .LBB3_83
; %bb.81:                               ;   in Loop: Header=BB3_37 Depth=1
	s_mov_b64 s[12:13], 0
	s_mov_b64 s[14:15], s[0:1]
.LBB3_82:                               ;   Parent Loop BB3_37 Depth=1
                                        ; =>  This Inner Loop Header: Depth=2
	global_load_u8 v2, v6, s[14:15]
	s_add_i32 s18, s18, -1
	s_waitcnt vmcnt(0)
	v_and_b32_e32 v5, 0xffff, v2
	s_delay_alu instid0(VALU_DEP_1)
	v_lshlrev_b64 v[2:3], s12, v[5:6]
	s_add_u32 s12, s12, 8
	s_addc_u32 s13, s13, 0
	s_add_u32 s14, s14, 1
	s_addc_u32 s15, s15, 0
	s_cmp_lg_u32 s18, 0
	v_or_b32_e32 v23, v2, v23
	v_or_b32_e32 v24, v3, v24
	s_cbranch_scc1 .LBB3_82
.LBB3_83:                               ;   in Loop: Header=BB3_37 Depth=1
	s_cbranch_execz .LBB3_85
	s_branch .LBB3_86
.LBB3_84:                               ;   in Loop: Header=BB3_37 Depth=1
.LBB3_85:                               ;   in Loop: Header=BB3_37 Depth=1
	global_load_b64 v[23:24], v6, s[0:1]
.LBB3_86:                               ;   in Loop: Header=BB3_37 Depth=1
	v_readfirstlane_b32 s0, v30
	v_mov_b32_e32 v2, 0
	v_mov_b32_e32 v3, 0
	s_delay_alu instid0(VALU_DEP_3) | instskip(NEXT) | instid1(VALU_DEP_1)
	v_cmp_eq_u32_e64 s0, s0, v30
	s_and_saveexec_b32 s1, s0
	s_cbranch_execz .LBB3_92
; %bb.87:                               ;   in Loop: Header=BB3_37 Depth=1
	global_load_b64 v[27:28], v6, s[2:3] offset:24 glc
	s_waitcnt vmcnt(0)
	buffer_gl1_inv
	buffer_gl0_inv
	s_clause 0x1
	global_load_b64 v[2:3], v6, s[2:3] offset:40
	global_load_b64 v[25:26], v6, s[2:3]
	s_mov_b32 s12, exec_lo
	s_waitcnt vmcnt(1)
	v_and_b32_e32 v3, v3, v28
	v_and_b32_e32 v2, v2, v27
	s_delay_alu instid0(VALU_DEP_2) | instskip(NEXT) | instid1(VALU_DEP_2)
	v_mul_lo_u32 v3, v3, 24
	v_mul_hi_u32 v5, v2, 24
	v_mul_lo_u32 v2, v2, 24
	s_delay_alu instid0(VALU_DEP_2) | instskip(SKIP_1) | instid1(VALU_DEP_2)
	v_add_nc_u32_e32 v3, v5, v3
	s_waitcnt vmcnt(0)
	v_add_co_u32 v2, vcc_lo, v25, v2
	s_delay_alu instid0(VALU_DEP_2)
	v_add_co_ci_u32_e32 v3, vcc_lo, v26, v3, vcc_lo
	global_load_b64 v[25:26], v[2:3], off glc
	s_waitcnt vmcnt(0)
	global_atomic_cmpswap_b64 v[2:3], v6, v[25:28], s[2:3] offset:24 glc
	s_waitcnt vmcnt(0)
	buffer_gl1_inv
	buffer_gl0_inv
	v_cmpx_ne_u64_e64 v[2:3], v[27:28]
	s_cbranch_execz .LBB3_91
; %bb.88:                               ;   in Loop: Header=BB3_37 Depth=1
	s_mov_b32 s13, 0
	.p2align	6
.LBB3_89:                               ;   Parent Loop BB3_37 Depth=1
                                        ; =>  This Inner Loop Header: Depth=2
	s_sleep 1
	s_clause 0x1
	global_load_b64 v[25:26], v6, s[2:3] offset:40
	global_load_b64 v[31:32], v6, s[2:3]
	v_dual_mov_b32 v28, v3 :: v_dual_mov_b32 v27, v2
	s_waitcnt vmcnt(1)
	s_delay_alu instid0(VALU_DEP_1) | instskip(SKIP_1) | instid1(VALU_DEP_1)
	v_and_b32_e32 v5, v25, v27
	s_waitcnt vmcnt(0)
	v_mad_u64_u32 v[2:3], null, v5, 24, v[31:32]
	v_and_b32_e32 v5, v26, v28
	s_delay_alu instid0(VALU_DEP_1) | instskip(NEXT) | instid1(VALU_DEP_1)
	v_mad_u64_u32 v[25:26], null, v5, 24, v[3:4]
	v_mov_b32_e32 v3, v25
	global_load_b64 v[25:26], v[2:3], off glc
	s_waitcnt vmcnt(0)
	global_atomic_cmpswap_b64 v[2:3], v6, v[25:28], s[2:3] offset:24 glc
	s_waitcnt vmcnt(0)
	buffer_gl1_inv
	buffer_gl0_inv
	v_cmp_eq_u64_e32 vcc_lo, v[2:3], v[27:28]
	s_or_b32 s13, vcc_lo, s13
	s_delay_alu instid0(SALU_CYCLE_1)
	s_and_not1_b32 exec_lo, exec_lo, s13
	s_cbranch_execnz .LBB3_89
; %bb.90:                               ;   in Loop: Header=BB3_37 Depth=1
	s_or_b32 exec_lo, exec_lo, s13
.LBB3_91:                               ;   in Loop: Header=BB3_37 Depth=1
	s_delay_alu instid0(SALU_CYCLE_1)
	s_or_b32 exec_lo, exec_lo, s12
.LBB3_92:                               ;   in Loop: Header=BB3_37 Depth=1
	s_delay_alu instid0(SALU_CYCLE_1)
	s_or_b32 exec_lo, exec_lo, s1
	s_clause 0x1
	global_load_b64 v[31:32], v6, s[2:3] offset:40
	global_load_b128 v[25:28], v6, s[2:3]
	v_readfirstlane_b32 s12, v2
	v_readfirstlane_b32 s13, v3
	s_mov_b32 s1, exec_lo
	s_waitcnt vmcnt(1)
	v_readfirstlane_b32 s14, v31
	v_readfirstlane_b32 s15, v32
	s_delay_alu instid0(VALU_DEP_1) | instskip(NEXT) | instid1(SALU_CYCLE_1)
	s_and_b64 s[14:15], s[12:13], s[14:15]
	s_mul_i32 s16, s15, 24
	s_mul_hi_u32 s18, s14, 24
	s_mul_i32 s19, s14, 24
	s_add_i32 s18, s18, s16
	s_waitcnt vmcnt(0)
	v_add_co_u32 v2, vcc_lo, v25, s19
	v_add_co_ci_u32_e32 v3, vcc_lo, s18, v26, vcc_lo
	s_and_saveexec_b32 s16, s0
	s_cbranch_execz .LBB3_94
; %bb.93:                               ;   in Loop: Header=BB3_37 Depth=1
	v_mov_b32_e32 v5, s1
	global_store_b128 v[2:3], v[5:8], off offset:8
.LBB3_94:                               ;   in Loop: Header=BB3_37 Depth=1
	s_or_b32 exec_lo, exec_lo, s16
	s_lshl_b64 s[14:15], s[14:15], 12
	v_or_b32_e32 v5, 2, v9
	v_add_co_u32 v27, vcc_lo, v27, s14
	v_add_co_ci_u32_e32 v28, vcc_lo, s15, v28, vcc_lo
	v_cmp_gt_u64_e64 vcc_lo, s[6:7], 56
	s_lshl_b32 s1, s10, 2
	s_delay_alu instid0(VALU_DEP_3) | instskip(SKIP_4) | instid1(VALU_DEP_1)
	v_readfirstlane_b32 s14, v27
	s_add_i32 s1, s1, 28
	v_readfirstlane_b32 s15, v28
	s_and_b32 s1, s1, 0x1e0
	v_cndmask_b32_e32 v5, v5, v9, vcc_lo
	v_and_or_b32 v9, 0xffffff1f, v5, s1
	s_clause 0x3
	global_store_b128 v29, v[9:12], s[14:15]
	global_store_b128 v29, v[13:16], s[14:15] offset:16
	global_store_b128 v29, v[17:20], s[14:15] offset:32
	;; [unrolled: 1-line block ×3, first 2 shown]
	s_and_saveexec_b32 s1, s0
	s_cbranch_execz .LBB3_102
; %bb.95:                               ;   in Loop: Header=BB3_37 Depth=1
	s_clause 0x1
	global_load_b64 v[17:18], v6, s[2:3] offset:32 glc
	global_load_b64 v[9:10], v6, s[2:3] offset:40
	v_dual_mov_b32 v15, s12 :: v_dual_mov_b32 v16, s13
	s_waitcnt vmcnt(0)
	v_readfirstlane_b32 s14, v9
	v_readfirstlane_b32 s15, v10
	s_delay_alu instid0(VALU_DEP_1) | instskip(NEXT) | instid1(SALU_CYCLE_1)
	s_and_b64 s[14:15], s[14:15], s[12:13]
	s_mul_i32 s15, s15, 24
	s_mul_hi_u32 s16, s14, 24
	s_mul_i32 s14, s14, 24
	s_add_i32 s16, s16, s15
	v_add_co_u32 v13, vcc_lo, v25, s14
	v_add_co_ci_u32_e32 v14, vcc_lo, s16, v26, vcc_lo
	s_mov_b32 s14, exec_lo
	global_store_b64 v[13:14], v[17:18], off
	s_waitcnt_vscnt null, 0x0
	global_atomic_cmpswap_b64 v[11:12], v6, v[15:18], s[2:3] offset:32 glc
	s_waitcnt vmcnt(0)
	v_cmpx_ne_u64_e64 v[11:12], v[17:18]
	s_cbranch_execz .LBB3_98
; %bb.96:                               ;   in Loop: Header=BB3_37 Depth=1
	s_mov_b32 s15, 0
.LBB3_97:                               ;   Parent Loop BB3_37 Depth=1
                                        ; =>  This Inner Loop Header: Depth=2
	v_dual_mov_b32 v9, s12 :: v_dual_mov_b32 v10, s13
	s_sleep 1
	global_store_b64 v[13:14], v[11:12], off
	s_waitcnt_vscnt null, 0x0
	global_atomic_cmpswap_b64 v[9:10], v6, v[9:12], s[2:3] offset:32 glc
	s_waitcnt vmcnt(0)
	v_cmp_eq_u64_e32 vcc_lo, v[9:10], v[11:12]
	v_dual_mov_b32 v12, v10 :: v_dual_mov_b32 v11, v9
	s_or_b32 s15, vcc_lo, s15
	s_delay_alu instid0(SALU_CYCLE_1)
	s_and_not1_b32 exec_lo, exec_lo, s15
	s_cbranch_execnz .LBB3_97
.LBB3_98:                               ;   in Loop: Header=BB3_37 Depth=1
	s_or_b32 exec_lo, exec_lo, s14
	global_load_b64 v[9:10], v6, s[2:3] offset:16
	s_mov_b32 s15, exec_lo
	s_mov_b32 s14, exec_lo
	v_mbcnt_lo_u32_b32 v5, s15, 0
	s_delay_alu instid0(VALU_DEP_1)
	v_cmpx_eq_u32_e32 0, v5
	s_cbranch_execz .LBB3_100
; %bb.99:                               ;   in Loop: Header=BB3_37 Depth=1
	s_bcnt1_i32_b32 s15, s15
	s_delay_alu instid0(SALU_CYCLE_1)
	v_mov_b32_e32 v5, s15
	s_waitcnt vmcnt(0)
	global_atomic_add_u64 v[9:10], v[5:6], off offset:8
.LBB3_100:                              ;   in Loop: Header=BB3_37 Depth=1
	s_or_b32 exec_lo, exec_lo, s14
	s_waitcnt vmcnt(0)
	global_load_b64 v[11:12], v[9:10], off offset:16
	s_waitcnt vmcnt(0)
	v_cmp_eq_u64_e32 vcc_lo, 0, v[11:12]
	s_cbranch_vccnz .LBB3_102
; %bb.101:                              ;   in Loop: Header=BB3_37 Depth=1
	global_load_b32 v5, v[9:10], off offset:24
	s_waitcnt vmcnt(0)
	v_and_b32_e32 v9, 0xffffff, v5
	s_waitcnt_vscnt null, 0x0
	global_store_b64 v[11:12], v[5:6], off
	v_readfirstlane_b32 m0, v9
	s_sendmsg sendmsg(MSG_INTERRUPT)
.LBB3_102:                              ;   in Loop: Header=BB3_37 Depth=1
	s_or_b32 exec_lo, exec_lo, s1
	v_add_co_u32 v9, vcc_lo, v27, v29
	v_add_co_ci_u32_e32 v10, vcc_lo, 0, v28, vcc_lo
	s_branch .LBB3_106
	.p2align	6
.LBB3_103:                              ;   in Loop: Header=BB3_106 Depth=2
	s_or_b32 exec_lo, exec_lo, s1
	s_delay_alu instid0(VALU_DEP_1) | instskip(NEXT) | instid1(VALU_DEP_1)
	v_readfirstlane_b32 s1, v5
	s_cmp_eq_u32 s1, 0
	s_cbranch_scc1 .LBB3_105
; %bb.104:                              ;   in Loop: Header=BB3_106 Depth=2
	s_sleep 1
	s_cbranch_execnz .LBB3_106
	s_branch .LBB3_108
	.p2align	6
.LBB3_105:                              ;   in Loop: Header=BB3_37 Depth=1
	s_branch .LBB3_108
.LBB3_106:                              ;   Parent Loop BB3_37 Depth=1
                                        ; =>  This Inner Loop Header: Depth=2
	v_mov_b32_e32 v5, 1
	s_and_saveexec_b32 s1, s0
	s_cbranch_execz .LBB3_103
; %bb.107:                              ;   in Loop: Header=BB3_106 Depth=2
	global_load_b32 v5, v[2:3], off offset:20 glc
	s_waitcnt vmcnt(0)
	buffer_gl1_inv
	buffer_gl0_inv
	v_and_b32_e32 v5, 1, v5
	s_branch .LBB3_103
.LBB3_108:                              ;   in Loop: Header=BB3_37 Depth=1
	global_load_b128 v[9:12], v[9:10], off
	s_and_saveexec_b32 s1, s0
	s_cbranch_execz .LBB3_36
; %bb.109:                              ;   in Loop: Header=BB3_37 Depth=1
	s_clause 0x2
	global_load_b64 v[2:3], v6, s[2:3] offset:40
	global_load_b64 v[15:16], v6, s[2:3] offset:24 glc
	global_load_b64 v[13:14], v6, s[2:3]
	s_waitcnt vmcnt(2)
	v_add_co_u32 v5, vcc_lo, v2, 1
	v_add_co_ci_u32_e32 v17, vcc_lo, 0, v3, vcc_lo
	s_delay_alu instid0(VALU_DEP_2) | instskip(NEXT) | instid1(VALU_DEP_2)
	v_add_co_u32 v11, vcc_lo, v5, s12
	v_add_co_ci_u32_e32 v12, vcc_lo, s13, v17, vcc_lo
	s_delay_alu instid0(VALU_DEP_1) | instskip(SKIP_1) | instid1(VALU_DEP_1)
	v_cmp_eq_u64_e32 vcc_lo, 0, v[11:12]
	v_cndmask_b32_e32 v11, v11, v5, vcc_lo
	v_and_b32_e32 v2, v11, v2
	s_delay_alu instid0(VALU_DEP_1) | instskip(SKIP_2) | instid1(VALU_DEP_2)
	v_mul_hi_u32 v5, v2, 24
	v_cndmask_b32_e32 v12, v12, v17, vcc_lo
	v_mul_lo_u32 v2, v2, 24
	v_and_b32_e32 v3, v12, v3
	s_waitcnt vmcnt(0)
	s_delay_alu instid0(VALU_DEP_2) | instskip(NEXT) | instid1(VALU_DEP_2)
	v_add_co_u32 v2, vcc_lo, v13, v2
	v_mul_lo_u32 v3, v3, 24
	v_mov_b32_e32 v13, v15
	s_delay_alu instid0(VALU_DEP_2) | instskip(NEXT) | instid1(VALU_DEP_1)
	v_add_nc_u32_e32 v3, v5, v3
	v_add_co_ci_u32_e32 v3, vcc_lo, v14, v3, vcc_lo
	v_mov_b32_e32 v14, v16
	global_store_b64 v[2:3], v[15:16], off
	s_waitcnt_vscnt null, 0x0
	global_atomic_cmpswap_b64 v[13:14], v6, v[11:14], s[2:3] offset:24 glc
	s_waitcnt vmcnt(0)
	v_cmp_ne_u64_e32 vcc_lo, v[13:14], v[15:16]
	s_and_b32 exec_lo, exec_lo, vcc_lo
	s_cbranch_execz .LBB3_36
; %bb.110:                              ;   in Loop: Header=BB3_37 Depth=1
	s_mov_b32 s0, 0
.LBB3_111:                              ;   Parent Loop BB3_37 Depth=1
                                        ; =>  This Inner Loop Header: Depth=2
	s_sleep 1
	global_store_b64 v[2:3], v[13:14], off
	s_waitcnt_vscnt null, 0x0
	global_atomic_cmpswap_b64 v[15:16], v6, v[11:14], s[2:3] offset:24 glc
	s_waitcnt vmcnt(0)
	v_cmp_eq_u64_e32 vcc_lo, v[15:16], v[13:14]
	v_dual_mov_b32 v13, v15 :: v_dual_mov_b32 v14, v16
	s_or_b32 s0, vcc_lo, s0
	s_delay_alu instid0(SALU_CYCLE_1)
	s_and_not1_b32 exec_lo, exec_lo, s0
	s_cbranch_execnz .LBB3_111
	s_branch .LBB3_36
.LBB3_112:
	v_mov_b32_e32 v53, v4
	s_branch .LBB3_141
.LBB3_113:
	v_mov_b32_e32 v53, v4
	s_cbranch_execz .LBB3_141
; %bb.114:
	v_readfirstlane_b32 s0, v30
	s_waitcnt vmcnt(0)
	v_mov_b32_e32 v8, 0
	v_mov_b32_e32 v9, 0
	s_delay_alu instid0(VALU_DEP_3) | instskip(NEXT) | instid1(VALU_DEP_1)
	v_cmp_eq_u32_e64 s0, s0, v30
	s_and_saveexec_b32 s1, s0
	s_cbranch_execz .LBB3_120
; %bb.115:
	v_mov_b32_e32 v2, 0
	s_mov_b32 s4, exec_lo
	global_load_b64 v[5:6], v2, s[2:3] offset:24 glc
	s_waitcnt vmcnt(0)
	buffer_gl1_inv
	buffer_gl0_inv
	s_clause 0x1
	global_load_b64 v[3:4], v2, s[2:3] offset:40
	global_load_b64 v[7:8], v2, s[2:3]
	s_waitcnt vmcnt(1)
	v_and_b32_e32 v3, v3, v5
	v_and_b32_e32 v4, v4, v6
	s_delay_alu instid0(VALU_DEP_2) | instskip(NEXT) | instid1(VALU_DEP_2)
	v_mul_hi_u32 v9, v3, 24
	v_mul_lo_u32 v4, v4, 24
	v_mul_lo_u32 v3, v3, 24
	s_delay_alu instid0(VALU_DEP_2) | instskip(SKIP_1) | instid1(VALU_DEP_2)
	v_add_nc_u32_e32 v4, v9, v4
	s_waitcnt vmcnt(0)
	v_add_co_u32 v3, vcc_lo, v7, v3
	s_delay_alu instid0(VALU_DEP_2)
	v_add_co_ci_u32_e32 v4, vcc_lo, v8, v4, vcc_lo
	global_load_b64 v[3:4], v[3:4], off glc
	s_waitcnt vmcnt(0)
	global_atomic_cmpswap_b64 v[8:9], v2, v[3:6], s[2:3] offset:24 glc
	s_waitcnt vmcnt(0)
	buffer_gl1_inv
	buffer_gl0_inv
	v_cmpx_ne_u64_e64 v[8:9], v[5:6]
	s_cbranch_execz .LBB3_119
; %bb.116:
	s_mov_b32 s5, 0
	.p2align	6
.LBB3_117:                              ; =>This Inner Loop Header: Depth=1
	s_sleep 1
	s_clause 0x1
	global_load_b64 v[3:4], v2, s[2:3] offset:40
	global_load_b64 v[10:11], v2, s[2:3]
	v_dual_mov_b32 v5, v8 :: v_dual_mov_b32 v6, v9
	s_waitcnt vmcnt(1)
	s_delay_alu instid0(VALU_DEP_1) | instskip(NEXT) | instid1(VALU_DEP_2)
	v_and_b32_e32 v3, v3, v5
	v_and_b32_e32 v4, v4, v6
	s_waitcnt vmcnt(0)
	s_delay_alu instid0(VALU_DEP_2) | instskip(NEXT) | instid1(VALU_DEP_1)
	v_mad_u64_u32 v[7:8], null, v3, 24, v[10:11]
	v_mov_b32_e32 v3, v8
	s_delay_alu instid0(VALU_DEP_1)
	v_mad_u64_u32 v[8:9], null, v4, 24, v[3:4]
	global_load_b64 v[3:4], v[7:8], off glc
	s_waitcnt vmcnt(0)
	global_atomic_cmpswap_b64 v[8:9], v2, v[3:6], s[2:3] offset:24 glc
	s_waitcnt vmcnt(0)
	buffer_gl1_inv
	buffer_gl0_inv
	v_cmp_eq_u64_e32 vcc_lo, v[8:9], v[5:6]
	s_or_b32 s5, vcc_lo, s5
	s_delay_alu instid0(SALU_CYCLE_1)
	s_and_not1_b32 exec_lo, exec_lo, s5
	s_cbranch_execnz .LBB3_117
; %bb.118:
	s_or_b32 exec_lo, exec_lo, s5
.LBB3_119:
	s_delay_alu instid0(SALU_CYCLE_1)
	s_or_b32 exec_lo, exec_lo, s4
.LBB3_120:
	s_delay_alu instid0(SALU_CYCLE_1)
	s_or_b32 exec_lo, exec_lo, s1
	v_mov_b32_e32 v2, 0
	v_readfirstlane_b32 s4, v8
	v_readfirstlane_b32 s5, v9
	s_mov_b32 s1, exec_lo
	s_clause 0x1
	global_load_b64 v[10:11], v2, s[2:3] offset:40
	global_load_b128 v[4:7], v2, s[2:3]
	s_waitcnt vmcnt(1)
	v_readfirstlane_b32 s6, v10
	v_readfirstlane_b32 s7, v11
	s_delay_alu instid0(VALU_DEP_1) | instskip(NEXT) | instid1(SALU_CYCLE_1)
	s_and_b64 s[6:7], s[4:5], s[6:7]
	s_mul_i32 s10, s7, 24
	s_mul_hi_u32 s11, s6, 24
	s_mul_i32 s12, s6, 24
	s_add_i32 s11, s11, s10
	s_waitcnt vmcnt(0)
	v_add_co_u32 v8, vcc_lo, v4, s12
	v_add_co_ci_u32_e32 v9, vcc_lo, s11, v5, vcc_lo
	s_and_saveexec_b32 s10, s0
	s_cbranch_execz .LBB3_122
; %bb.121:
	v_dual_mov_b32 v10, s1 :: v_dual_mov_b32 v11, v2
	v_dual_mov_b32 v12, 2 :: v_dual_mov_b32 v13, 1
	global_store_b128 v[8:9], v[10:13], off offset:8
.LBB3_122:
	s_or_b32 exec_lo, exec_lo, s10
	s_lshl_b64 s[6:7], s[6:7], 12
	s_mov_b32 s12, 0
	v_add_co_u32 v6, vcc_lo, v6, s6
	v_add_co_ci_u32_e32 v7, vcc_lo, s7, v7, vcc_lo
	s_mov_b32 s13, s12
	s_mov_b32 s14, s12
	;; [unrolled: 1-line block ×3, first 2 shown]
	v_and_or_b32 v0, 0xffffff1d, v0, 34
	v_dual_mov_b32 v3, v2 :: v_dual_mov_b32 v10, s12
	v_readfirstlane_b32 s6, v6
	v_readfirstlane_b32 s7, v7
	v_dual_mov_b32 v11, s13 :: v_dual_mov_b32 v12, s14
	v_mov_b32_e32 v13, s15
	s_clause 0x3
	global_store_b128 v29, v[0:3], s[6:7]
	global_store_b128 v29, v[10:13], s[6:7] offset:16
	global_store_b128 v29, v[10:13], s[6:7] offset:32
	;; [unrolled: 1-line block ×3, first 2 shown]
	s_and_saveexec_b32 s1, s0
	s_cbranch_execz .LBB3_130
; %bb.123:
	v_dual_mov_b32 v6, 0 :: v_dual_mov_b32 v11, s5
	v_mov_b32_e32 v10, s4
	s_clause 0x1
	global_load_b64 v[12:13], v6, s[2:3] offset:32 glc
	global_load_b64 v[0:1], v6, s[2:3] offset:40
	s_waitcnt vmcnt(0)
	v_readfirstlane_b32 s6, v0
	v_readfirstlane_b32 s7, v1
	s_delay_alu instid0(VALU_DEP_1) | instskip(NEXT) | instid1(SALU_CYCLE_1)
	s_and_b64 s[6:7], s[6:7], s[4:5]
	s_mul_i32 s7, s7, 24
	s_mul_hi_u32 s10, s6, 24
	s_mul_i32 s6, s6, 24
	s_add_i32 s10, s10, s7
	v_add_co_u32 v4, vcc_lo, v4, s6
	v_add_co_ci_u32_e32 v5, vcc_lo, s10, v5, vcc_lo
	s_mov_b32 s6, exec_lo
	global_store_b64 v[4:5], v[12:13], off
	s_waitcnt_vscnt null, 0x0
	global_atomic_cmpswap_b64 v[2:3], v6, v[10:13], s[2:3] offset:32 glc
	s_waitcnt vmcnt(0)
	v_cmpx_ne_u64_e64 v[2:3], v[12:13]
	s_cbranch_execz .LBB3_126
; %bb.124:
	s_mov_b32 s7, 0
.LBB3_125:                              ; =>This Inner Loop Header: Depth=1
	v_dual_mov_b32 v0, s4 :: v_dual_mov_b32 v1, s5
	s_sleep 1
	global_store_b64 v[4:5], v[2:3], off
	s_waitcnt_vscnt null, 0x0
	global_atomic_cmpswap_b64 v[0:1], v6, v[0:3], s[2:3] offset:32 glc
	s_waitcnt vmcnt(0)
	v_cmp_eq_u64_e32 vcc_lo, v[0:1], v[2:3]
	v_dual_mov_b32 v3, v1 :: v_dual_mov_b32 v2, v0
	s_or_b32 s7, vcc_lo, s7
	s_delay_alu instid0(SALU_CYCLE_1)
	s_and_not1_b32 exec_lo, exec_lo, s7
	s_cbranch_execnz .LBB3_125
.LBB3_126:
	s_or_b32 exec_lo, exec_lo, s6
	v_mov_b32_e32 v3, 0
	s_mov_b32 s7, exec_lo
	s_mov_b32 s6, exec_lo
	v_mbcnt_lo_u32_b32 v2, s7, 0
	global_load_b64 v[0:1], v3, s[2:3] offset:16
	v_cmpx_eq_u32_e32 0, v2
	s_cbranch_execz .LBB3_128
; %bb.127:
	s_bcnt1_i32_b32 s7, s7
	s_delay_alu instid0(SALU_CYCLE_1)
	v_mov_b32_e32 v2, s7
	s_waitcnt vmcnt(0)
	global_atomic_add_u64 v[0:1], v[2:3], off offset:8
.LBB3_128:
	s_or_b32 exec_lo, exec_lo, s6
	s_waitcnt vmcnt(0)
	global_load_b64 v[2:3], v[0:1], off offset:16
	s_waitcnt vmcnt(0)
	v_cmp_eq_u64_e32 vcc_lo, 0, v[2:3]
	s_cbranch_vccnz .LBB3_130
; %bb.129:
	global_load_b32 v0, v[0:1], off offset:24
	s_waitcnt vmcnt(0)
	v_dual_mov_b32 v1, 0 :: v_dual_and_b32 v4, 0xffffff, v0
	s_waitcnt_vscnt null, 0x0
	global_store_b64 v[2:3], v[0:1], off
	v_readfirstlane_b32 m0, v4
	s_sendmsg sendmsg(MSG_INTERRUPT)
.LBB3_130:
	s_or_b32 exec_lo, exec_lo, s1
	s_branch .LBB3_134
	.p2align	6
.LBB3_131:                              ;   in Loop: Header=BB3_134 Depth=1
	s_or_b32 exec_lo, exec_lo, s1
	s_delay_alu instid0(VALU_DEP_1) | instskip(NEXT) | instid1(VALU_DEP_1)
	v_readfirstlane_b32 s1, v0
	s_cmp_eq_u32 s1, 0
	s_cbranch_scc1 .LBB3_133
; %bb.132:                              ;   in Loop: Header=BB3_134 Depth=1
	s_sleep 1
	s_cbranch_execnz .LBB3_134
	s_branch .LBB3_136
	.p2align	6
.LBB3_133:
	s_branch .LBB3_136
.LBB3_134:                              ; =>This Inner Loop Header: Depth=1
	v_mov_b32_e32 v0, 1
	s_and_saveexec_b32 s1, s0
	s_cbranch_execz .LBB3_131
; %bb.135:                              ;   in Loop: Header=BB3_134 Depth=1
	global_load_b32 v0, v[8:9], off offset:20 glc
	s_waitcnt vmcnt(0)
	buffer_gl1_inv
	buffer_gl0_inv
	v_and_b32_e32 v0, 1, v0
	s_branch .LBB3_131
.LBB3_136:
	s_and_saveexec_b32 s1, s0
	s_cbranch_execz .LBB3_140
; %bb.137:
	v_mov_b32_e32 v6, 0
	s_clause 0x2
	global_load_b64 v[2:3], v6, s[2:3] offset:40
	global_load_b64 v[7:8], v6, s[2:3] offset:24 glc
	global_load_b64 v[4:5], v6, s[2:3]
	s_waitcnt vmcnt(2)
	v_add_co_u32 v9, vcc_lo, v2, 1
	v_add_co_ci_u32_e32 v10, vcc_lo, 0, v3, vcc_lo
	s_delay_alu instid0(VALU_DEP_2) | instskip(NEXT) | instid1(VALU_DEP_2)
	v_add_co_u32 v0, vcc_lo, v9, s4
	v_add_co_ci_u32_e32 v1, vcc_lo, s5, v10, vcc_lo
	s_delay_alu instid0(VALU_DEP_1) | instskip(SKIP_1) | instid1(VALU_DEP_1)
	v_cmp_eq_u64_e32 vcc_lo, 0, v[0:1]
	v_dual_cndmask_b32 v1, v1, v10 :: v_dual_cndmask_b32 v0, v0, v9
	v_and_b32_e32 v3, v1, v3
	s_delay_alu instid0(VALU_DEP_2) | instskip(NEXT) | instid1(VALU_DEP_2)
	v_and_b32_e32 v2, v0, v2
	v_mul_lo_u32 v3, v3, 24
	s_delay_alu instid0(VALU_DEP_2) | instskip(SKIP_1) | instid1(VALU_DEP_2)
	v_mul_hi_u32 v9, v2, 24
	v_mul_lo_u32 v2, v2, 24
	v_add_nc_u32_e32 v3, v9, v3
	s_waitcnt vmcnt(0)
	s_delay_alu instid0(VALU_DEP_2) | instskip(SKIP_1) | instid1(VALU_DEP_3)
	v_add_co_u32 v4, vcc_lo, v4, v2
	v_mov_b32_e32 v2, v7
	v_add_co_ci_u32_e32 v5, vcc_lo, v5, v3, vcc_lo
	v_mov_b32_e32 v3, v8
	global_store_b64 v[4:5], v[7:8], off
	s_waitcnt_vscnt null, 0x0
	global_atomic_cmpswap_b64 v[2:3], v6, v[0:3], s[2:3] offset:24 glc
	s_waitcnt vmcnt(0)
	v_cmp_ne_u64_e32 vcc_lo, v[2:3], v[7:8]
	s_and_b32 exec_lo, exec_lo, vcc_lo
	s_cbranch_execz .LBB3_140
; %bb.138:
	s_mov_b32 s0, 0
.LBB3_139:                              ; =>This Inner Loop Header: Depth=1
	s_sleep 1
	global_store_b64 v[4:5], v[2:3], off
	s_waitcnt_vscnt null, 0x0
	global_atomic_cmpswap_b64 v[7:8], v6, v[0:3], s[2:3] offset:24 glc
	s_waitcnt vmcnt(0)
	v_cmp_eq_u64_e32 vcc_lo, v[7:8], v[2:3]
	v_dual_mov_b32 v2, v7 :: v_dual_mov_b32 v3, v8
	s_or_b32 s0, vcc_lo, s0
	s_delay_alu instid0(SALU_CYCLE_1)
	s_and_not1_b32 exec_lo, exec_lo, s0
	s_cbranch_execnz .LBB3_139
.LBB3_140:
	s_or_b32 exec_lo, exec_lo, s1
.LBB3_141:
	s_getpc_b64 s[0:1]
	s_add_u32 s0, s0, .str.29@rel32@lo+4
	s_addc_u32 s1, s1, .str.29@rel32@hi+12
	s_getpc_b64 s[2:3]
	s_add_u32 s2, s2, .str.19@rel32@lo+4
	s_addc_u32 s3, s3, .str.19@rel32@hi+12
	s_getpc_b64 s[4:5]
	s_add_u32 s4, s4, __PRETTY_FUNCTION__._ZN7VecsMemIjLi8192EE5fetchEi@rel32@lo+4
	s_addc_u32 s5, s5, __PRETTY_FUNCTION__._ZN7VecsMemIjLi8192EE5fetchEi@rel32@hi+12
	s_waitcnt vmcnt(0)
	v_dual_mov_b32 v0, s0 :: v_dual_mov_b32 v1, s1
	v_dual_mov_b32 v2, s2 :: v_dual_mov_b32 v3, s3
	;; [unrolled: 1-line block ×3, first 2 shown]
	v_mov_b32_e32 v6, s5
	s_getpc_b64 s[6:7]
	s_add_u32 s6, s6, __assert_fail@rel32@lo+4
	s_addc_u32 s7, s7, __assert_fail@rel32@hi+12
	s_mov_b64 s[18:19], s[8:9]
	s_swappc_b64 s[30:31], s[6:7]
	v_mov_b32_e32 v4, v53
	s_mov_b64 s[8:9], s[18:19]
	s_mov_b32 s0, exec_lo
.LBB3_142:
	s_or_b32 exec_lo, exec_lo, s21
	s_delay_alu instid0(SALU_CYCLE_1)
	s_and_b32 s43, s0, exec_lo
	s_or_not1_b32 s0, s20, exec_lo
	s_or_b32 exec_lo, exec_lo, s17
	s_and_saveexec_b32 s50, s0
	s_cbranch_execz .LBB3_2
.LBB3_143:
	s_mov_b32 s17, s43
	s_mov_b32 s0, exec_lo
	v_cmpx_ne_u64_e32 0, v[41:42]
	s_xor_b32 s51, exec_lo, s0
	s_cbranch_execz .LBB3_644
; %bb.144:
	v_dual_mov_b32 v1, 0 :: v_dual_mov_b32 v0, v73
	s_mov_b32 s1, 0
                                        ; implicit-def: $sgpr0
                                        ; implicit-def: $sgpr3
                                        ; implicit-def: $sgpr2
	s_set_inst_prefetch_distance 0x1
	s_branch .LBB3_146
	.p2align	6
.LBB3_145:                              ;   in Loop: Header=BB3_146 Depth=1
	s_or_b32 exec_lo, exec_lo, s4
	s_xor_b32 s4, s2, -1
	s_and_b32 s5, exec_lo, s3
	s_delay_alu instid0(SALU_CYCLE_1) | instskip(SKIP_2) | instid1(SALU_CYCLE_1)
	s_or_b32 s1, s5, s1
	s_and_not1_b32 s0, s0, exec_lo
	s_and_b32 s4, s4, exec_lo
	s_or_b32 s0, s0, s4
	s_and_not1_b32 exec_lo, exec_lo, s1
	s_cbranch_execz .LBB3_148
.LBB3_146:                              ; =>This Inner Loop Header: Depth=1
	s_or_b32 s2, s2, exec_lo
	s_or_b32 s3, s3, exec_lo
	s_mov_b32 s4, exec_lo
	v_cmpx_lt_i32_e32 0, v0
	s_cbranch_execz .LBB3_145
; %bb.147:                              ;   in Loop: Header=BB3_146 Depth=1
	v_add_nc_u32_e32 v0, -1, v0
	s_and_not1_b32 s3, s3, exec_lo
	s_and_not1_b32 s2, s2, exec_lo
	s_delay_alu instid0(VALU_DEP_1) | instskip(NEXT) | instid1(VALU_DEP_1)
	v_lshlrev_b64 v[2:3], 2, v[0:1]
	v_add_co_u32 v2, vcc_lo, v58, v2
	s_delay_alu instid0(VALU_DEP_2) | instskip(SKIP_4) | instid1(SALU_CYCLE_1)
	v_add_co_ci_u32_e32 v3, vcc_lo, v59, v3, vcc_lo
	flat_load_b32 v2, v[2:3]
	s_waitcnt vmcnt(0) lgkmcnt(0)
	v_cmp_ne_u32_e32 vcc_lo, 0, v2
	s_and_b32 s5, vcc_lo, exec_lo
	s_or_b32 s3, s3, s5
	s_branch .LBB3_145
.LBB3_148:
	s_set_inst_prefetch_distance 0x2
	s_or_b32 exec_lo, exec_lo, s1
	s_mov_b32 s2, 0
	s_mov_b32 s1, s43
	s_and_saveexec_b32 s3, s0
	s_delay_alu instid0(SALU_CYCLE_1)
	s_xor_b32 s52, exec_lo, s3
	s_cbranch_execz .LBB3_638
; %bb.149:
	v_dual_mov_b32 v1, 0 :: v_dual_mov_b32 v0, v73
	s_mov_b32 s1, 0
                                        ; implicit-def: $sgpr0
                                        ; implicit-def: $sgpr3
                                        ; implicit-def: $sgpr2
	s_set_inst_prefetch_distance 0x1
	s_branch .LBB3_151
	.p2align	6
.LBB3_150:                              ;   in Loop: Header=BB3_151 Depth=1
	s_or_b32 exec_lo, exec_lo, s4
	s_xor_b32 s4, s2, -1
	s_and_b32 s5, exec_lo, s3
	s_delay_alu instid0(SALU_CYCLE_1) | instskip(SKIP_2) | instid1(SALU_CYCLE_1)
	s_or_b32 s1, s5, s1
	s_and_not1_b32 s0, s0, exec_lo
	s_and_b32 s4, s4, exec_lo
	s_or_b32 s0, s0, s4
	s_and_not1_b32 exec_lo, exec_lo, s1
	s_cbranch_execz .LBB3_153
.LBB3_151:                              ; =>This Inner Loop Header: Depth=1
	s_or_b32 s2, s2, exec_lo
	s_or_b32 s3, s3, exec_lo
	s_mov_b32 s4, exec_lo
	v_cmpx_lt_i32_e32 0, v0
	s_cbranch_execz .LBB3_150
; %bb.152:                              ;   in Loop: Header=BB3_151 Depth=1
	v_add_nc_u32_e32 v0, -1, v0
	s_and_not1_b32 s3, s3, exec_lo
	s_and_not1_b32 s2, s2, exec_lo
	s_delay_alu instid0(VALU_DEP_1) | instskip(NEXT) | instid1(VALU_DEP_1)
	v_lshlrev_b64 v[2:3], 2, v[0:1]
	v_add_co_u32 v2, vcc_lo, v56, v2
	s_delay_alu instid0(VALU_DEP_2) | instskip(SKIP_4) | instid1(SALU_CYCLE_1)
	v_add_co_ci_u32_e32 v3, vcc_lo, v57, v3, vcc_lo
	flat_load_b32 v2, v[2:3]
	s_waitcnt vmcnt(0) lgkmcnt(0)
	v_cmp_ne_u32_e32 vcc_lo, -1, v2
	s_and_b32 s5, vcc_lo, exec_lo
	s_or_b32 s3, s3, s5
	s_branch .LBB3_150
.LBB3_153:
	s_set_inst_prefetch_distance 0x2
	s_or_b32 exec_lo, exec_lo, s1
	s_mov_b32 s17, 0
	s_mov_b32 s20, s43
	s_and_saveexec_b32 s1, s0
	s_delay_alu instid0(SALU_CYCLE_1)
	s_xor_b32 s53, exec_lo, s1
	s_cbranch_execz .LBB3_494
; %bb.154:
	s_mov_b32 s0, -1
	s_mov_b32 s3, exec_lo
                                        ; implicit-def: $sgpr55
                                        ; implicit-def: $vgpr47
                                        ; implicit-def: $vgpr53
	v_cmpx_lt_i32_e32 0, v4
	s_cbranch_execnz .LBB3_157
; %bb.155:
	s_or_b32 exec_lo, exec_lo, s3
	s_mov_b32 s54, s43
	s_and_saveexec_b32 s20, s0
	s_cbranch_execnz .LBB3_290
.LBB3_156:
	s_or_b32 exec_lo, exec_lo, s20
	s_mov_b32 s0, 0
	s_and_saveexec_b32 s56, s17
	s_cbranch_execnz .LBB3_291
	s_branch .LBB3_493
.LBB3_157:
	v_cmp_lt_i32_e32 vcc_lo, 0, v73
	s_mov_b32 s5, 0
                                        ; implicit-def: $sgpr4
	s_branch .LBB3_160
.LBB3_158:                              ;   in Loop: Header=BB3_160 Depth=1
	s_or_b32 exec_lo, exec_lo, s1
	s_delay_alu instid0(SALU_CYCLE_1)
	s_and_not1_b32 s1, s6, exec_lo
	s_and_b32 s2, s11, exec_lo
	v_mov_b32_e32 v4, v47
	s_or_b32 s6, s1, s2
	s_or_not1_b32 s0, s0, exec_lo
.LBB3_159:                              ;   in Loop: Header=BB3_160 Depth=1
	s_or_b32 exec_lo, exec_lo, s7
	s_xor_b32 s1, s6, -1
	s_and_b32 s0, exec_lo, s0
	s_delay_alu instid0(SALU_CYCLE_1) | instskip(SKIP_2) | instid1(SALU_CYCLE_1)
	s_or_b32 s5, s0, s5
	s_and_not1_b32 s0, s4, exec_lo
	s_and_b32 s1, s1, exec_lo
	s_or_b32 s4, s0, s1
	s_and_not1_b32 exec_lo, exec_lo, s5
	s_cbranch_execz .LBB3_289
.LBB3_160:                              ; =>This Loop Header: Depth=1
                                        ;     Child Loop BB3_169 Depth 2
                                        ;       Child Loop BB3_172 Depth 3
                                        ;     Child Loop BB3_183 Depth 2
                                        ;     Child Loop BB3_192 Depth 2
	;; [unrolled: 1-line block ×10, first 2 shown]
                                        ;       Child Loop BB3_274 Depth 3
                                        ;     Child Loop BB3_284 Depth 2
	v_add_nc_u32_e32 v47, -1, v4
	s_mov_b32 s2, 0
                                        ; implicit-def: $sgpr6
                                        ; implicit-def: $vgpr53
	s_mov_b32 s1, exec_lo
	v_cmpx_lt_i32_e32 2, v4
	s_xor_b32 s7, exec_lo, s1
	s_cbranch_execnz .LBB3_163
; %bb.161:                              ;   in Loop: Header=BB3_160 Depth=1
	s_and_not1_saveexec_b32 s7, s7
	s_cbranch_execnz .LBB3_206
.LBB3_162:                              ;   in Loop: Header=BB3_160 Depth=1
	s_or_b32 exec_lo, exec_lo, s7
	s_mov_b32 s0, -1
	s_and_saveexec_b32 s7, s2
	s_cbranch_execz .LBB3_159
	s_branch .LBB3_223
.LBB3_163:                              ;   in Loop: Header=BB3_160 Depth=1
                                        ; implicit-def: $sgpr10
                                        ; implicit-def: $vgpr53
	s_mov_b32 s1, exec_lo
	v_cmpx_lt_i32_e32 3, v4
	s_xor_b32 s6, exec_lo, s1
	s_cbranch_execz .LBB3_197
; %bb.164:                              ;   in Loop: Header=BB3_160 Depth=1
                                        ; implicit-def: $sgpr11
                                        ; implicit-def: $vgpr53
	s_mov_b32 s1, exec_lo
	v_cmpx_lt_i32_e32 4, v4
	s_xor_b32 s10, exec_lo, s1
	s_cbranch_execz .LBB3_188
; %bb.165:                              ;   in Loop: Header=BB3_160 Depth=1
                                        ; implicit-def: $sgpr12
                                        ; implicit-def: $vgpr53
	s_mov_b32 s1, exec_lo
	v_cmpx_ne_u32_e32 5, v4
	s_xor_b32 s11, exec_lo, s1
	s_cbranch_execz .LBB3_179
; %bb.166:                              ;   in Loop: Header=BB3_160 Depth=1
	s_mov_b32 s0, -1
                                        ; implicit-def: $sgpr1
	s_and_saveexec_b32 s12, vcc_lo
	s_cbranch_execz .LBB3_178
; %bb.167:                              ;   in Loop: Header=BB3_160 Depth=1
	v_add_nc_u32_e32 v5, -6, v4
	v_dual_mov_b32 v7, v58 :: v_dual_mov_b32 v8, v59
	s_mov_b32 s13, 0
                                        ; implicit-def: $sgpr14
                                        ; implicit-def: $sgpr15
	s_delay_alu instid0(VALU_DEP_2) | instskip(SKIP_2) | instid1(VALU_DEP_3)
	v_lshlrev_b32_e64 v2, v5, 1
	v_lshlrev_b32_e64 v0, v5, 2
	v_cmp_ne_u32_e64 s0, 31, v5
	v_ashrrev_i32_e32 v3, 31, v2
	s_delay_alu instid0(VALU_DEP_3) | instskip(SKIP_1) | instid1(VALU_DEP_3)
	v_ashrrev_i32_e32 v1, 31, v0
	v_max_i32_e32 v11, 1, v2
	v_lshlrev_b64 v[2:3], 2, v[2:3]
	s_delay_alu instid0(VALU_DEP_3)
	v_lshlrev_b64 v[5:6], 2, v[0:1]
	v_mov_b32_e32 v1, 0
	s_branch .LBB3_169
.LBB3_168:                              ;   in Loop: Header=BB3_169 Depth=2
	s_or_b32 exec_lo, exec_lo, s17
	s_xor_b32 s1, s18, -1
	s_and_b32 s2, exec_lo, s16
	s_delay_alu instid0(SALU_CYCLE_1)
	s_or_b32 s13, s2, s13
	s_and_not1_b32 s2, s15, exec_lo
	s_and_b32 s15, s18, exec_lo
	s_and_not1_b32 s14, s14, exec_lo
	s_and_b32 s1, s1, exec_lo
	s_or_b32 s15, s2, s15
	s_or_b32 s14, s14, s1
	s_and_not1_b32 exec_lo, exec_lo, s13
	s_cbranch_execz .LBB3_177
.LBB3_169:                              ;   Parent Loop BB3_160 Depth=1
                                        ; =>  This Loop Header: Depth=2
                                        ;       Child Loop BB3_172 Depth 3
	s_mov_b32 s16, -1
	s_mov_b32 s1, -1
                                        ; implicit-def: $sgpr18
	s_and_saveexec_b32 s17, s0
	s_cbranch_execz .LBB3_175
; %bb.170:                              ;   in Loop: Header=BB3_169 Depth=2
	v_dual_mov_b32 v10, v8 :: v_dual_mov_b32 v9, v7
	v_mov_b32_e32 v12, v11
	s_mov_b32 s18, 0
                                        ; implicit-def: $sgpr19
                                        ; implicit-def: $sgpr21
                                        ; implicit-def: $sgpr20
	s_set_inst_prefetch_distance 0x1
	s_branch .LBB3_172
	.p2align	6
.LBB3_171:                              ;   in Loop: Header=BB3_172 Depth=3
	s_or_b32 exec_lo, exec_lo, s22
	s_xor_b32 s1, s20, -1
	s_and_b32 s2, exec_lo, s21
	s_delay_alu instid0(SALU_CYCLE_1) | instskip(SKIP_2) | instid1(SALU_CYCLE_1)
	s_or_b32 s18, s2, s18
	s_and_not1_b32 s2, s19, exec_lo
	s_and_b32 s1, s1, exec_lo
	s_or_b32 s19, s2, s1
	s_and_not1_b32 exec_lo, exec_lo, s18
	s_cbranch_execz .LBB3_174
.LBB3_172:                              ;   Parent Loop BB3_160 Depth=1
                                        ;     Parent Loop BB3_169 Depth=2
                                        ; =>    This Inner Loop Header: Depth=3
	v_add_co_u32 v13, s1, v9, v2
	s_delay_alu instid0(VALU_DEP_1)
	v_add_co_ci_u32_e64 v14, s1, v10, v3, s1
	s_or_b32 s20, s20, exec_lo
	s_or_b32 s21, s21, exec_lo
	s_clause 0x1
	flat_load_b32 v15, v[9:10]
	flat_load_b32 v13, v[13:14]
	s_mov_b32 s22, exec_lo
	s_waitcnt vmcnt(0) lgkmcnt(0)
	v_cmpx_eq_u32_e64 v15, v13
	s_cbranch_execz .LBB3_171
; %bb.173:                              ;   in Loop: Header=BB3_172 Depth=3
	v_add_nc_u32_e32 v12, -1, v12
	v_add_co_u32 v9, s2, v9, 4
	s_delay_alu instid0(VALU_DEP_1) | instskip(NEXT) | instid1(VALU_DEP_3)
	v_add_co_ci_u32_e64 v10, s2, 0, v10, s2
	v_cmp_eq_u32_e64 s1, 0, v12
	s_and_not1_b32 s2, s21, exec_lo
	s_and_not1_b32 s20, s20, exec_lo
	s_delay_alu instid0(VALU_DEP_1) | instskip(NEXT) | instid1(SALU_CYCLE_1)
	s_and_b32 s1, s1, exec_lo
	s_or_b32 s21, s2, s1
	s_branch .LBB3_171
.LBB3_174:                              ;   in Loop: Header=BB3_169 Depth=2
	s_set_inst_prefetch_distance 0x2
	s_or_b32 exec_lo, exec_lo, s18
	s_mov_b32 s18, -1
	s_or_not1_b32 s1, s19, exec_lo
.LBB3_175:                              ;   in Loop: Header=BB3_169 Depth=2
	s_or_b32 exec_lo, exec_lo, s17
	s_and_saveexec_b32 s17, s1
	s_cbranch_execz .LBB3_168
; %bb.176:                              ;   in Loop: Header=BB3_169 Depth=2
	v_add_nc_u32_e32 v1, v1, v0
	v_add_co_u32 v7, s2, v7, v5
	s_delay_alu instid0(VALU_DEP_1) | instskip(NEXT) | instid1(VALU_DEP_3)
	v_add_co_ci_u32_e64 v8, s2, v8, v6, s2
	v_cmp_ge_i32_e64 s1, v1, v73
	s_and_not1_b32 s18, s18, exec_lo
	s_delay_alu instid0(VALU_DEP_1)
	s_or_not1_b32 s16, s1, exec_lo
	s_branch .LBB3_168
.LBB3_177:                              ;   in Loop: Header=BB3_160 Depth=1
	s_or_b32 exec_lo, exec_lo, s13
	s_delay_alu instid0(SALU_CYCLE_1)
	s_and_b32 s1, s15, exec_lo
	s_or_not1_b32 s0, s14, exec_lo
.LBB3_178:                              ;   in Loop: Header=BB3_160 Depth=1
	s_or_b32 exec_lo, exec_lo, s12
	v_mov_b32_e32 v53, v4
	s_and_b32 s12, s1, exec_lo
	s_and_b32 s2, s0, exec_lo
.LBB3_179:                              ;   in Loop: Header=BB3_160 Depth=1
	s_and_not1_saveexec_b32 s11, s11
	s_cbranch_execz .LBB3_187
; %bb.180:                              ;   in Loop: Header=BB3_160 Depth=1
	s_mov_b32 s0, -1
                                        ; implicit-def: $sgpr1
                                        ; implicit-def: $sgpr14
	s_and_saveexec_b32 s13, vcc_lo
	s_cbranch_execz .LBB3_186
; %bb.181:                              ;   in Loop: Header=BB3_160 Depth=1
	v_dual_mov_b32 v0, v58 :: v_dual_mov_b32 v1, v59
	v_mov_b32_e32 v2, v73
	s_mov_b32 s14, 0
                                        ; implicit-def: $sgpr15
                                        ; implicit-def: $sgpr17
                                        ; implicit-def: $sgpr16
	s_set_inst_prefetch_distance 0x1
	s_branch .LBB3_183
	.p2align	6
.LBB3_182:                              ;   in Loop: Header=BB3_183 Depth=2
	s_or_b32 exec_lo, exec_lo, s18
	s_xor_b32 s0, s16, -1
	s_and_b32 s1, exec_lo, s17
	s_delay_alu instid0(SALU_CYCLE_1) | instskip(SKIP_2) | instid1(SALU_CYCLE_1)
	s_or_b32 s14, s1, s14
	s_and_not1_b32 s1, s15, exec_lo
	s_and_b32 s0, s0, exec_lo
	s_or_b32 s15, s1, s0
	s_and_not1_b32 exec_lo, exec_lo, s14
	s_cbranch_execz .LBB3_185
.LBB3_183:                              ;   Parent Loop BB3_160 Depth=1
                                        ; =>  This Inner Loop Header: Depth=2
	flat_load_b32 v3, v[0:1]
	s_or_b32 s16, s16, exec_lo
	s_or_b32 s17, s17, exec_lo
	s_mov_b32 s18, exec_lo
	s_waitcnt vmcnt(0) lgkmcnt(0)
	v_and_b32_e32 v5, 0xffff, v3
	v_lshrrev_b32_e32 v3, 16, v3
	s_delay_alu instid0(VALU_DEP_1)
	v_cmpx_eq_u32_e64 v5, v3
	s_cbranch_execz .LBB3_182
; %bb.184:                              ;   in Loop: Header=BB3_183 Depth=2
	v_add_nc_u32_e32 v2, -1, v2
	v_add_co_u32 v0, s1, v0, 4
	s_delay_alu instid0(VALU_DEP_1) | instskip(NEXT) | instid1(VALU_DEP_3)
	v_add_co_ci_u32_e64 v1, s1, 0, v1, s1
	v_cmp_eq_u32_e64 s0, 0, v2
	s_and_not1_b32 s1, s17, exec_lo
	s_and_not1_b32 s16, s16, exec_lo
	s_delay_alu instid0(VALU_DEP_1) | instskip(NEXT) | instid1(SALU_CYCLE_1)
	s_and_b32 s0, s0, exec_lo
	s_or_b32 s17, s1, s0
	s_branch .LBB3_182
.LBB3_185:                              ;   in Loop: Header=BB3_160 Depth=1
	s_set_inst_prefetch_distance 0x2
	s_or_b32 exec_lo, exec_lo, s14
	s_mov_b32 s14, 5
	s_mov_b32 s1, -1
	s_or_not1_b32 s0, s15, exec_lo
.LBB3_186:                              ;   in Loop: Header=BB3_160 Depth=1
	s_or_b32 exec_lo, exec_lo, s13
	v_mov_b32_e32 v53, s14
	s_and_not1_b32 s12, s12, exec_lo
	s_and_b32 s1, s1, exec_lo
	s_and_not1_b32 s2, s2, exec_lo
	s_and_b32 s0, s0, exec_lo
	s_or_b32 s12, s12, s1
	s_or_b32 s2, s2, s0
.LBB3_187:                              ;   in Loop: Header=BB3_160 Depth=1
	s_or_b32 exec_lo, exec_lo, s11
	s_delay_alu instid0(SALU_CYCLE_1)
	s_and_b32 s11, s12, exec_lo
	s_and_b32 s2, s2, exec_lo
.LBB3_188:                              ;   in Loop: Header=BB3_160 Depth=1
	s_and_not1_saveexec_b32 s10, s10
	s_cbranch_execz .LBB3_196
; %bb.189:                              ;   in Loop: Header=BB3_160 Depth=1
	s_mov_b32 s0, -1
                                        ; implicit-def: $sgpr1
                                        ; implicit-def: $sgpr13
	s_and_saveexec_b32 s12, vcc_lo
	s_cbranch_execz .LBB3_195
; %bb.190:                              ;   in Loop: Header=BB3_160 Depth=1
	v_dual_mov_b32 v0, v58 :: v_dual_mov_b32 v1, v59
	v_mov_b32_e32 v2, v73
	s_mov_b32 s13, 0
                                        ; implicit-def: $sgpr14
                                        ; implicit-def: $sgpr16
                                        ; implicit-def: $sgpr15
	s_set_inst_prefetch_distance 0x1
	s_branch .LBB3_192
	.p2align	6
.LBB3_191:                              ;   in Loop: Header=BB3_192 Depth=2
	s_or_b32 exec_lo, exec_lo, s17
	s_xor_b32 s0, s15, -1
	s_and_b32 s1, exec_lo, s16
	s_delay_alu instid0(SALU_CYCLE_1) | instskip(SKIP_2) | instid1(SALU_CYCLE_1)
	s_or_b32 s13, s1, s13
	s_and_not1_b32 s1, s14, exec_lo
	s_and_b32 s0, s0, exec_lo
	s_or_b32 s14, s1, s0
	s_and_not1_b32 exec_lo, exec_lo, s13
	s_cbranch_execz .LBB3_194
.LBB3_192:                              ;   Parent Loop BB3_160 Depth=1
                                        ; =>  This Inner Loop Header: Depth=2
	flat_load_b32 v3, v[0:1]
	s_or_b32 s15, s15, exec_lo
	s_or_b32 s16, s16, exec_lo
	s_mov_b32 s17, exec_lo
	s_waitcnt vmcnt(0) lgkmcnt(0)
	v_lshrrev_b32_e32 v5, 8, v3
	s_delay_alu instid0(VALU_DEP_1) | instskip(NEXT) | instid1(VALU_DEP_1)
	v_xor_b32_e32 v3, v5, v3
	v_and_b32_e32 v3, 0xff00ff, v3
	s_delay_alu instid0(VALU_DEP_1)
	v_cmpx_eq_u32_e32 0, v3
	s_cbranch_execz .LBB3_191
; %bb.193:                              ;   in Loop: Header=BB3_192 Depth=2
	v_add_nc_u32_e32 v2, -1, v2
	v_add_co_u32 v0, s1, v0, 4
	s_delay_alu instid0(VALU_DEP_1) | instskip(NEXT) | instid1(VALU_DEP_3)
	v_add_co_ci_u32_e64 v1, s1, 0, v1, s1
	v_cmp_eq_u32_e64 s0, 0, v2
	s_and_not1_b32 s1, s16, exec_lo
	s_and_not1_b32 s15, s15, exec_lo
	s_delay_alu instid0(VALU_DEP_1) | instskip(NEXT) | instid1(SALU_CYCLE_1)
	s_and_b32 s0, s0, exec_lo
	s_or_b32 s16, s1, s0
	s_branch .LBB3_191
.LBB3_194:                              ;   in Loop: Header=BB3_160 Depth=1
	s_set_inst_prefetch_distance 0x2
	s_or_b32 exec_lo, exec_lo, s13
	s_mov_b32 s13, 4
	s_mov_b32 s1, -1
	s_or_not1_b32 s0, s14, exec_lo
.LBB3_195:                              ;   in Loop: Header=BB3_160 Depth=1
	s_or_b32 exec_lo, exec_lo, s12
	v_mov_b32_e32 v53, s13
	s_and_not1_b32 s11, s11, exec_lo
	s_and_b32 s1, s1, exec_lo
	s_and_not1_b32 s2, s2, exec_lo
	s_and_b32 s0, s0, exec_lo
	s_or_b32 s11, s11, s1
	s_or_b32 s2, s2, s0
.LBB3_196:                              ;   in Loop: Header=BB3_160 Depth=1
	s_or_b32 exec_lo, exec_lo, s10
	s_delay_alu instid0(SALU_CYCLE_1)
	s_and_b32 s10, s11, exec_lo
	s_and_b32 s2, s2, exec_lo
.LBB3_197:                              ;   in Loop: Header=BB3_160 Depth=1
	s_and_not1_saveexec_b32 s6, s6
	s_cbranch_execz .LBB3_205
; %bb.198:                              ;   in Loop: Header=BB3_160 Depth=1
	s_mov_b32 s0, -1
                                        ; implicit-def: $sgpr1
                                        ; implicit-def: $sgpr12
	s_and_saveexec_b32 s11, vcc_lo
	s_cbranch_execz .LBB3_204
; %bb.199:                              ;   in Loop: Header=BB3_160 Depth=1
	v_dual_mov_b32 v0, v58 :: v_dual_mov_b32 v1, v59
	v_mov_b32_e32 v2, v73
	s_mov_b32 s12, 0
                                        ; implicit-def: $sgpr13
                                        ; implicit-def: $sgpr15
                                        ; implicit-def: $sgpr14
	s_set_inst_prefetch_distance 0x1
	s_branch .LBB3_201
	.p2align	6
.LBB3_200:                              ;   in Loop: Header=BB3_201 Depth=2
	s_or_b32 exec_lo, exec_lo, s16
	s_xor_b32 s0, s14, -1
	s_and_b32 s1, exec_lo, s15
	s_delay_alu instid0(SALU_CYCLE_1) | instskip(SKIP_2) | instid1(SALU_CYCLE_1)
	s_or_b32 s12, s1, s12
	s_and_not1_b32 s1, s13, exec_lo
	s_and_b32 s0, s0, exec_lo
	s_or_b32 s13, s1, s0
	s_and_not1_b32 exec_lo, exec_lo, s12
	s_cbranch_execz .LBB3_203
.LBB3_201:                              ;   Parent Loop BB3_160 Depth=1
                                        ; =>  This Inner Loop Header: Depth=2
	flat_load_b32 v3, v[0:1]
	s_or_b32 s14, s14, exec_lo
	s_or_b32 s15, s15, exec_lo
	s_mov_b32 s16, exec_lo
	s_waitcnt vmcnt(0) lgkmcnt(0)
	v_lshrrev_b32_e32 v5, 4, v3
	s_delay_alu instid0(VALU_DEP_1) | instskip(NEXT) | instid1(VALU_DEP_1)
	v_xor_b32_e32 v3, v5, v3
	v_and_b32_e32 v3, 0xf0f0f0f, v3
	s_delay_alu instid0(VALU_DEP_1)
	v_cmpx_eq_u32_e32 0, v3
	s_cbranch_execz .LBB3_200
; %bb.202:                              ;   in Loop: Header=BB3_201 Depth=2
	v_add_nc_u32_e32 v2, -1, v2
	v_add_co_u32 v0, s1, v0, 4
	s_delay_alu instid0(VALU_DEP_1) | instskip(NEXT) | instid1(VALU_DEP_3)
	v_add_co_ci_u32_e64 v1, s1, 0, v1, s1
	v_cmp_eq_u32_e64 s0, 0, v2
	s_and_not1_b32 s1, s15, exec_lo
	s_and_not1_b32 s14, s14, exec_lo
	s_delay_alu instid0(VALU_DEP_1) | instskip(NEXT) | instid1(SALU_CYCLE_1)
	s_and_b32 s0, s0, exec_lo
	s_or_b32 s15, s1, s0
	s_branch .LBB3_200
.LBB3_203:                              ;   in Loop: Header=BB3_160 Depth=1
	s_set_inst_prefetch_distance 0x2
	s_or_b32 exec_lo, exec_lo, s12
	s_mov_b32 s12, 3
	s_mov_b32 s1, -1
	s_or_not1_b32 s0, s13, exec_lo
.LBB3_204:                              ;   in Loop: Header=BB3_160 Depth=1
	s_or_b32 exec_lo, exec_lo, s11
	v_mov_b32_e32 v53, s12
	s_and_not1_b32 s10, s10, exec_lo
	s_and_b32 s1, s1, exec_lo
	s_and_not1_b32 s2, s2, exec_lo
	s_and_b32 s0, s0, exec_lo
	s_or_b32 s10, s10, s1
	s_or_b32 s2, s2, s0
.LBB3_205:                              ;   in Loop: Header=BB3_160 Depth=1
	s_or_b32 exec_lo, exec_lo, s6
	s_delay_alu instid0(SALU_CYCLE_1)
	s_and_b32 s6, s10, exec_lo
	s_and_b32 s2, s2, exec_lo
	s_and_not1_saveexec_b32 s7, s7
	s_cbranch_execz .LBB3_162
.LBB3_206:                              ;   in Loop: Header=BB3_160 Depth=1
	s_mov_b32 s11, s2
	s_mov_b32 s12, exec_lo
                                        ; implicit-def: $sgpr10
                                        ; implicit-def: $sgpr1
	v_cmpx_lt_i32_e32 1, v4
	s_xor_b32 s12, exec_lo, s12
	s_cbranch_execz .LBB3_214
; %bb.207:                              ;   in Loop: Header=BB3_160 Depth=1
	s_mov_b32 s0, -1
                                        ; implicit-def: $sgpr10
                                        ; implicit-def: $sgpr1
	s_and_saveexec_b32 s11, vcc_lo
	s_cbranch_execz .LBB3_213
; %bb.208:                              ;   in Loop: Header=BB3_160 Depth=1
	v_dual_mov_b32 v0, v58 :: v_dual_mov_b32 v1, v59
	v_mov_b32_e32 v2, v73
	s_mov_b32 s10, 0
                                        ; implicit-def: $sgpr13
                                        ; implicit-def: $sgpr15
                                        ; implicit-def: $sgpr14
	s_set_inst_prefetch_distance 0x1
	s_branch .LBB3_210
	.p2align	6
.LBB3_209:                              ;   in Loop: Header=BB3_210 Depth=2
	s_or_b32 exec_lo, exec_lo, s16
	s_xor_b32 s0, s14, -1
	s_and_b32 s1, exec_lo, s15
	s_delay_alu instid0(SALU_CYCLE_1) | instskip(SKIP_2) | instid1(SALU_CYCLE_1)
	s_or_b32 s10, s1, s10
	s_and_not1_b32 s1, s13, exec_lo
	s_and_b32 s0, s0, exec_lo
	s_or_b32 s13, s1, s0
	s_and_not1_b32 exec_lo, exec_lo, s10
	s_cbranch_execz .LBB3_212
.LBB3_210:                              ;   Parent Loop BB3_160 Depth=1
                                        ; =>  This Inner Loop Header: Depth=2
	flat_load_b32 v3, v[0:1]
	s_or_b32 s14, s14, exec_lo
	s_or_b32 s15, s15, exec_lo
	s_mov_b32 s16, exec_lo
	s_waitcnt vmcnt(0) lgkmcnt(0)
	v_lshrrev_b32_e32 v5, 2, v3
	s_delay_alu instid0(VALU_DEP_1) | instskip(NEXT) | instid1(VALU_DEP_1)
	v_xor_b32_e32 v3, v5, v3
	v_and_b32_e32 v3, 0x33333333, v3
	s_delay_alu instid0(VALU_DEP_1)
	v_cmpx_eq_u32_e32 0, v3
	s_cbranch_execz .LBB3_209
; %bb.211:                              ;   in Loop: Header=BB3_210 Depth=2
	v_add_nc_u32_e32 v2, -1, v2
	v_add_co_u32 v0, s1, v0, 4
	s_delay_alu instid0(VALU_DEP_1) | instskip(NEXT) | instid1(VALU_DEP_3)
	v_add_co_ci_u32_e64 v1, s1, 0, v1, s1
	v_cmp_eq_u32_e64 s0, 0, v2
	s_and_not1_b32 s1, s15, exec_lo
	s_and_not1_b32 s14, s14, exec_lo
	s_delay_alu instid0(VALU_DEP_1) | instskip(NEXT) | instid1(SALU_CYCLE_1)
	s_and_b32 s0, s0, exec_lo
	s_or_b32 s15, s1, s0
	s_branch .LBB3_209
.LBB3_212:                              ;   in Loop: Header=BB3_160 Depth=1
	s_set_inst_prefetch_distance 0x2
	s_or_b32 exec_lo, exec_lo, s10
	s_mov_b32 s1, 2
	s_mov_b32 s10, -1
	s_or_not1_b32 s0, s13, exec_lo
.LBB3_213:                              ;   in Loop: Header=BB3_160 Depth=1
	s_or_b32 exec_lo, exec_lo, s11
	s_delay_alu instid0(SALU_CYCLE_1) | instskip(SKIP_1) | instid1(SALU_CYCLE_1)
	s_and_not1_b32 s11, s2, exec_lo
	s_and_b32 s0, s0, exec_lo
	s_or_b32 s11, s11, s0
.LBB3_214:                              ;   in Loop: Header=BB3_160 Depth=1
	s_or_saveexec_b32 s12, s12
	v_mov_b32_e32 v53, s1
	s_xor_b32 exec_lo, exec_lo, s12
	s_cbranch_execz .LBB3_222
; %bb.215:                              ;   in Loop: Header=BB3_160 Depth=1
	s_mov_b32 s0, -1
                                        ; implicit-def: $sgpr1
                                        ; implicit-def: $sgpr14
	s_and_saveexec_b32 s13, vcc_lo
	s_cbranch_execz .LBB3_221
; %bb.216:                              ;   in Loop: Header=BB3_160 Depth=1
	v_dual_mov_b32 v0, v58 :: v_dual_mov_b32 v1, v59
	v_mov_b32_e32 v2, v73
	s_mov_b32 s14, 0
                                        ; implicit-def: $sgpr15
                                        ; implicit-def: $sgpr17
                                        ; implicit-def: $sgpr16
	s_set_inst_prefetch_distance 0x1
	s_branch .LBB3_218
	.p2align	6
.LBB3_217:                              ;   in Loop: Header=BB3_218 Depth=2
	s_or_b32 exec_lo, exec_lo, s18
	s_xor_b32 s0, s16, -1
	s_and_b32 s1, exec_lo, s17
	s_delay_alu instid0(SALU_CYCLE_1) | instskip(SKIP_2) | instid1(SALU_CYCLE_1)
	s_or_b32 s14, s1, s14
	s_and_not1_b32 s1, s15, exec_lo
	s_and_b32 s0, s0, exec_lo
	s_or_b32 s15, s1, s0
	s_and_not1_b32 exec_lo, exec_lo, s14
	s_cbranch_execz .LBB3_220
.LBB3_218:                              ;   Parent Loop BB3_160 Depth=1
                                        ; =>  This Inner Loop Header: Depth=2
	flat_load_b32 v3, v[0:1]
	s_or_b32 s16, s16, exec_lo
	s_or_b32 s17, s17, exec_lo
	s_mov_b32 s18, exec_lo
	s_waitcnt vmcnt(0) lgkmcnt(0)
	v_lshrrev_b32_e32 v5, 1, v3
	s_delay_alu instid0(VALU_DEP_1) | instskip(NEXT) | instid1(VALU_DEP_1)
	v_xor_b32_e32 v3, v5, v3
	v_and_b32_e32 v3, 0x55555555, v3
	s_delay_alu instid0(VALU_DEP_1)
	v_cmpx_eq_u32_e32 0, v3
	s_cbranch_execz .LBB3_217
; %bb.219:                              ;   in Loop: Header=BB3_218 Depth=2
	v_add_nc_u32_e32 v2, -1, v2
	v_add_co_u32 v0, s1, v0, 4
	s_delay_alu instid0(VALU_DEP_1) | instskip(NEXT) | instid1(VALU_DEP_3)
	v_add_co_ci_u32_e64 v1, s1, 0, v1, s1
	v_cmp_eq_u32_e64 s0, 0, v2
	s_and_not1_b32 s1, s17, exec_lo
	s_and_not1_b32 s16, s16, exec_lo
	s_delay_alu instid0(VALU_DEP_1) | instskip(NEXT) | instid1(SALU_CYCLE_1)
	s_and_b32 s0, s0, exec_lo
	s_or_b32 s17, s1, s0
	s_branch .LBB3_217
.LBB3_220:                              ;   in Loop: Header=BB3_160 Depth=1
	s_set_inst_prefetch_distance 0x2
	s_or_b32 exec_lo, exec_lo, s14
	s_mov_b32 s14, 1
	s_mov_b32 s1, -1
	s_or_not1_b32 s0, s15, exec_lo
.LBB3_221:                              ;   in Loop: Header=BB3_160 Depth=1
	s_or_b32 exec_lo, exec_lo, s13
	s_delay_alu instid0(SALU_CYCLE_1)
	s_and_not1_b32 s10, s10, exec_lo
	s_and_b32 s1, s1, exec_lo
	s_and_not1_b32 s11, s11, exec_lo
	s_and_b32 s0, s0, exec_lo
	v_mov_b32_e32 v53, s14
	s_or_b32 s10, s10, s1
	s_or_b32 s11, s11, s0
.LBB3_222:                              ;   in Loop: Header=BB3_160 Depth=1
	s_or_b32 exec_lo, exec_lo, s12
	s_delay_alu instid0(SALU_CYCLE_1)
	s_and_not1_b32 s0, s6, exec_lo
	s_and_b32 s1, s10, exec_lo
	s_and_not1_b32 s2, s2, exec_lo
	s_and_b32 s10, s11, exec_lo
	s_or_b32 s6, s0, s1
	s_or_b32 s2, s2, s10
	s_or_b32 exec_lo, exec_lo, s7
	s_mov_b32 s0, -1
	s_and_saveexec_b32 s7, s2
	s_cbranch_execz .LBB3_159
.LBB3_223:                              ;   in Loop: Header=BB3_160 Depth=1
	s_mov_b32 s10, 0
	s_mov_b32 s14, 0
	;; [unrolled: 1-line block ×3, first 2 shown]
                                        ; implicit-def: $sgpr11
                                        ; implicit-def: $vgpr53
	s_mov_b32 s1, exec_lo
	v_cmpx_lt_i32_e32 2, v4
	s_xor_b32 s2, exec_lo, s1
	s_cbranch_execnz .LBB3_228
; %bb.224:                              ;   in Loop: Header=BB3_160 Depth=1
	s_and_not1_saveexec_b32 s2, s2
	s_cbranch_execnz .LBB3_257
.LBB3_225:                              ;   in Loop: Header=BB3_160 Depth=1
	s_or_b32 exec_lo, exec_lo, s2
	s_and_saveexec_b32 s13, s14
	s_cbranch_execnz .LBB3_268
.LBB3_226:                              ;   in Loop: Header=BB3_160 Depth=1
	s_or_b32 exec_lo, exec_lo, s13
	s_and_saveexec_b32 s0, s10
	s_delay_alu instid0(SALU_CYCLE_1)
	s_xor_b32 s2, exec_lo, s0
	s_cbranch_execnz .LBB3_281
.LBB3_227:                              ;   in Loop: Header=BB3_160 Depth=1
	s_or_b32 exec_lo, exec_lo, s2
	s_mov_b32 s0, -1
	s_and_saveexec_b32 s1, s12
	s_cbranch_execz .LBB3_158
	s_branch .LBB3_288
.LBB3_228:                              ;   in Loop: Header=BB3_160 Depth=1
	s_mov_b32 s13, 0
                                        ; implicit-def: $sgpr15
                                        ; implicit-def: $vgpr53
	s_mov_b32 s1, exec_lo
	v_cmpx_lt_i32_e32 3, v4
	s_xor_b32 s11, exec_lo, s1
	s_cbranch_execz .LBB3_248
; %bb.229:                              ;   in Loop: Header=BB3_160 Depth=1
	s_mov_b32 s15, exec_lo
                                        ; implicit-def: $sgpr12
                                        ; implicit-def: $sgpr1
	v_cmpx_lt_i32_e32 4, v4
	s_xor_b32 s15, exec_lo, s15
	s_cbranch_execz .LBB3_239
; %bb.230:                              ;   in Loop: Header=BB3_160 Depth=1
	s_mov_b32 s16, -1
	s_mov_b32 s13, exec_lo
                                        ; implicit-def: $sgpr12
                                        ; implicit-def: $sgpr1
	v_cmpx_eq_u32_e32 5, v4
	s_cbranch_execz .LBB3_238
; %bb.231:                              ;   in Loop: Header=BB3_160 Depth=1
                                        ; implicit-def: $sgpr12
                                        ; implicit-def: $sgpr1
	s_and_saveexec_b32 s14, vcc_lo
	s_cbranch_execz .LBB3_237
; %bb.232:                              ;   in Loop: Header=BB3_160 Depth=1
	v_dual_mov_b32 v0, v56 :: v_dual_mov_b32 v1, v57
	v_mov_b32_e32 v2, v73
	s_mov_b32 s12, 0
                                        ; implicit-def: $sgpr16
                                        ; implicit-def: $sgpr18
                                        ; implicit-def: $sgpr17
	s_set_inst_prefetch_distance 0x1
	s_branch .LBB3_234
	.p2align	6
.LBB3_233:                              ;   in Loop: Header=BB3_234 Depth=2
	s_or_b32 exec_lo, exec_lo, s19
	s_xor_b32 s0, s17, -1
	s_and_b32 s1, exec_lo, s18
	s_delay_alu instid0(SALU_CYCLE_1) | instskip(SKIP_2) | instid1(SALU_CYCLE_1)
	s_or_b32 s12, s1, s12
	s_and_not1_b32 s1, s16, exec_lo
	s_and_b32 s0, s0, exec_lo
	s_or_b32 s16, s1, s0
	s_and_not1_b32 exec_lo, exec_lo, s12
	s_cbranch_execz .LBB3_236
.LBB3_234:                              ;   Parent Loop BB3_160 Depth=1
                                        ; =>  This Inner Loop Header: Depth=2
	flat_load_b32 v3, v[0:1]
	s_or_b32 s17, s17, exec_lo
	s_or_b32 s18, s18, exec_lo
	s_mov_b32 s19, exec_lo
	s_waitcnt vmcnt(0) lgkmcnt(0)
	v_and_b32_e32 v5, 0xffff, v3
	v_lshrrev_b32_e32 v3, 16, v3
	s_delay_alu instid0(VALU_DEP_1)
	v_cmpx_eq_u32_e64 v5, v3
	s_cbranch_execz .LBB3_233
; %bb.235:                              ;   in Loop: Header=BB3_234 Depth=2
	v_add_nc_u32_e32 v2, -1, v2
	v_add_co_u32 v0, s1, v0, 4
	s_delay_alu instid0(VALU_DEP_1) | instskip(NEXT) | instid1(VALU_DEP_3)
	v_add_co_ci_u32_e64 v1, s1, 0, v1, s1
	v_cmp_eq_u32_e64 s0, 0, v2
	s_and_not1_b32 s1, s18, exec_lo
	s_and_not1_b32 s17, s17, exec_lo
	s_delay_alu instid0(VALU_DEP_1) | instskip(NEXT) | instid1(SALU_CYCLE_1)
	s_and_b32 s0, s0, exec_lo
	s_or_b32 s18, s1, s0
	s_branch .LBB3_233
.LBB3_236:                              ;   in Loop: Header=BB3_160 Depth=1
	s_set_inst_prefetch_distance 0x2
	s_or_b32 exec_lo, exec_lo, s12
	s_mov_b32 s1, 5
	s_mov_b32 s12, -1
	s_or_not1_b32 s0, s16, exec_lo
.LBB3_237:                              ;   in Loop: Header=BB3_160 Depth=1
	s_or_b32 exec_lo, exec_lo, s14
	s_delay_alu instid0(SALU_CYCLE_1)
	s_and_b32 s14, s0, exec_lo
	s_xor_b32 s16, exec_lo, -1
.LBB3_238:                              ;   in Loop: Header=BB3_160 Depth=1
	s_or_b32 exec_lo, exec_lo, s13
	s_delay_alu instid0(SALU_CYCLE_1)
	s_and_b32 s14, s14, exec_lo
	s_and_b32 s13, s16, exec_lo
.LBB3_239:                              ;   in Loop: Header=BB3_160 Depth=1
	s_or_saveexec_b32 s15, s15
	v_mov_b32_e32 v53, s1
	s_xor_b32 exec_lo, exec_lo, s15
	s_cbranch_execz .LBB3_247
; %bb.240:                              ;   in Loop: Header=BB3_160 Depth=1
	s_mov_b32 s0, -1
                                        ; implicit-def: $sgpr1
                                        ; implicit-def: $sgpr17
	s_and_saveexec_b32 s16, vcc_lo
	s_cbranch_execz .LBB3_246
; %bb.241:                              ;   in Loop: Header=BB3_160 Depth=1
	v_dual_mov_b32 v0, v56 :: v_dual_mov_b32 v1, v57
	v_mov_b32_e32 v2, v73
	s_mov_b32 s17, 0
                                        ; implicit-def: $sgpr18
                                        ; implicit-def: $sgpr20
                                        ; implicit-def: $sgpr19
	s_set_inst_prefetch_distance 0x1
	s_branch .LBB3_243
	.p2align	6
.LBB3_242:                              ;   in Loop: Header=BB3_243 Depth=2
	s_or_b32 exec_lo, exec_lo, s21
	s_xor_b32 s0, s19, -1
	s_and_b32 s1, exec_lo, s20
	s_delay_alu instid0(SALU_CYCLE_1) | instskip(SKIP_2) | instid1(SALU_CYCLE_1)
	s_or_b32 s17, s1, s17
	s_and_not1_b32 s1, s18, exec_lo
	s_and_b32 s0, s0, exec_lo
	s_or_b32 s18, s1, s0
	s_and_not1_b32 exec_lo, exec_lo, s17
	s_cbranch_execz .LBB3_245
.LBB3_243:                              ;   Parent Loop BB3_160 Depth=1
                                        ; =>  This Inner Loop Header: Depth=2
	flat_load_b32 v3, v[0:1]
	s_or_b32 s19, s19, exec_lo
	s_or_b32 s20, s20, exec_lo
	s_mov_b32 s21, exec_lo
	s_waitcnt vmcnt(0) lgkmcnt(0)
	v_lshrrev_b32_e32 v5, 8, v3
	s_delay_alu instid0(VALU_DEP_1) | instskip(NEXT) | instid1(VALU_DEP_1)
	v_xor_b32_e32 v3, v5, v3
	v_and_b32_e32 v3, 0xff00ff, v3
	s_delay_alu instid0(VALU_DEP_1)
	v_cmpx_eq_u32_e32 0, v3
	s_cbranch_execz .LBB3_242
; %bb.244:                              ;   in Loop: Header=BB3_243 Depth=2
	v_add_nc_u32_e32 v2, -1, v2
	v_add_co_u32 v0, s1, v0, 4
	s_delay_alu instid0(VALU_DEP_1) | instskip(NEXT) | instid1(VALU_DEP_3)
	v_add_co_ci_u32_e64 v1, s1, 0, v1, s1
	v_cmp_eq_u32_e64 s0, 0, v2
	s_and_not1_b32 s1, s20, exec_lo
	s_and_not1_b32 s19, s19, exec_lo
	s_delay_alu instid0(VALU_DEP_1) | instskip(NEXT) | instid1(SALU_CYCLE_1)
	s_and_b32 s0, s0, exec_lo
	s_or_b32 s20, s1, s0
	s_branch .LBB3_242
.LBB3_245:                              ;   in Loop: Header=BB3_160 Depth=1
	s_set_inst_prefetch_distance 0x2
	s_or_b32 exec_lo, exec_lo, s17
	s_mov_b32 s17, 4
	s_mov_b32 s1, -1
	s_or_not1_b32 s0, s18, exec_lo
.LBB3_246:                              ;   in Loop: Header=BB3_160 Depth=1
	s_or_b32 exec_lo, exec_lo, s16
	v_mov_b32_e32 v53, s17
	s_and_not1_b32 s12, s12, exec_lo
	s_and_b32 s1, s1, exec_lo
	s_and_not1_b32 s14, s14, exec_lo
	s_and_b32 s0, s0, exec_lo
	s_or_b32 s12, s12, s1
	s_or_b32 s14, s14, s0
.LBB3_247:                              ;   in Loop: Header=BB3_160 Depth=1
	s_or_b32 exec_lo, exec_lo, s15
	s_delay_alu instid0(SALU_CYCLE_1)
	s_and_b32 s15, s12, exec_lo
	s_and_b32 s12, s14, exec_lo
	;; [unrolled: 1-line block ×3, first 2 shown]
.LBB3_248:                              ;   in Loop: Header=BB3_160 Depth=1
	s_and_not1_saveexec_b32 s11, s11
	s_cbranch_execz .LBB3_256
; %bb.249:                              ;   in Loop: Header=BB3_160 Depth=1
	s_mov_b32 s0, -1
                                        ; implicit-def: $sgpr1
                                        ; implicit-def: $sgpr16
	s_and_saveexec_b32 s14, vcc_lo
	s_cbranch_execz .LBB3_255
; %bb.250:                              ;   in Loop: Header=BB3_160 Depth=1
	v_dual_mov_b32 v0, v56 :: v_dual_mov_b32 v1, v57
	v_mov_b32_e32 v2, v73
	s_mov_b32 s16, 0
                                        ; implicit-def: $sgpr17
                                        ; implicit-def: $sgpr19
                                        ; implicit-def: $sgpr18
	s_set_inst_prefetch_distance 0x1
	s_branch .LBB3_252
	.p2align	6
.LBB3_251:                              ;   in Loop: Header=BB3_252 Depth=2
	s_or_b32 exec_lo, exec_lo, s20
	s_xor_b32 s0, s18, -1
	s_and_b32 s1, exec_lo, s19
	s_delay_alu instid0(SALU_CYCLE_1) | instskip(SKIP_2) | instid1(SALU_CYCLE_1)
	s_or_b32 s16, s1, s16
	s_and_not1_b32 s1, s17, exec_lo
	s_and_b32 s0, s0, exec_lo
	s_or_b32 s17, s1, s0
	s_and_not1_b32 exec_lo, exec_lo, s16
	s_cbranch_execz .LBB3_254
.LBB3_252:                              ;   Parent Loop BB3_160 Depth=1
                                        ; =>  This Inner Loop Header: Depth=2
	flat_load_b32 v3, v[0:1]
	s_or_b32 s18, s18, exec_lo
	s_or_b32 s19, s19, exec_lo
	s_mov_b32 s20, exec_lo
	s_waitcnt vmcnt(0) lgkmcnt(0)
	v_lshrrev_b32_e32 v5, 4, v3
	s_delay_alu instid0(VALU_DEP_1) | instskip(NEXT) | instid1(VALU_DEP_1)
	v_xor_b32_e32 v3, v5, v3
	v_and_b32_e32 v3, 0xf0f0f0f, v3
	s_delay_alu instid0(VALU_DEP_1)
	v_cmpx_eq_u32_e32 0, v3
	s_cbranch_execz .LBB3_251
; %bb.253:                              ;   in Loop: Header=BB3_252 Depth=2
	v_add_nc_u32_e32 v2, -1, v2
	v_add_co_u32 v0, s1, v0, 4
	s_delay_alu instid0(VALU_DEP_1) | instskip(NEXT) | instid1(VALU_DEP_3)
	v_add_co_ci_u32_e64 v1, s1, 0, v1, s1
	v_cmp_eq_u32_e64 s0, 0, v2
	s_and_not1_b32 s1, s19, exec_lo
	s_and_not1_b32 s18, s18, exec_lo
	s_delay_alu instid0(VALU_DEP_1) | instskip(NEXT) | instid1(SALU_CYCLE_1)
	s_and_b32 s0, s0, exec_lo
	s_or_b32 s19, s1, s0
	s_branch .LBB3_251
.LBB3_254:                              ;   in Loop: Header=BB3_160 Depth=1
	s_set_inst_prefetch_distance 0x2
	s_or_b32 exec_lo, exec_lo, s16
	s_mov_b32 s16, 3
	s_mov_b32 s1, -1
	s_or_not1_b32 s0, s17, exec_lo
.LBB3_255:                              ;   in Loop: Header=BB3_160 Depth=1
	s_or_b32 exec_lo, exec_lo, s14
	v_mov_b32_e32 v53, s16
	s_and_not1_b32 s14, s15, exec_lo
	s_and_b32 s1, s1, exec_lo
	s_and_not1_b32 s12, s12, exec_lo
	s_and_b32 s0, s0, exec_lo
	s_or_b32 s15, s14, s1
	s_or_b32 s12, s12, s0
.LBB3_256:                              ;   in Loop: Header=BB3_160 Depth=1
	s_or_b32 exec_lo, exec_lo, s11
	s_delay_alu instid0(SALU_CYCLE_1)
	s_and_b32 s11, s15, exec_lo
	s_and_b32 s12, s12, exec_lo
	;; [unrolled: 1-line block ×3, first 2 shown]
	s_and_not1_saveexec_b32 s2, s2
	s_cbranch_execz .LBB3_225
.LBB3_257:                              ;   in Loop: Header=BB3_160 Depth=1
	s_mov_b32 s13, s12
	s_mov_b32 s10, exec_lo
                                        ; implicit-def: $sgpr1
                                        ; implicit-def: $sgpr15
	v_cmpx_lt_i32_e32 1, v4
	s_xor_b32 s10, exec_lo, s10
	s_cbranch_execz .LBB3_265
; %bb.258:                              ;   in Loop: Header=BB3_160 Depth=1
	s_mov_b32 s0, -1
                                        ; implicit-def: $sgpr1
                                        ; implicit-def: $sgpr15
	s_and_saveexec_b32 s13, vcc_lo
	s_cbranch_execz .LBB3_264
; %bb.259:                              ;   in Loop: Header=BB3_160 Depth=1
	v_dual_mov_b32 v0, v56 :: v_dual_mov_b32 v1, v57
	v_mov_b32_e32 v2, v73
	s_mov_b32 s15, 0
                                        ; implicit-def: $sgpr16
                                        ; implicit-def: $sgpr18
                                        ; implicit-def: $sgpr17
	s_set_inst_prefetch_distance 0x1
	s_branch .LBB3_261
	.p2align	6
.LBB3_260:                              ;   in Loop: Header=BB3_261 Depth=2
	s_or_b32 exec_lo, exec_lo, s19
	s_xor_b32 s0, s17, -1
	s_and_b32 s1, exec_lo, s18
	s_delay_alu instid0(SALU_CYCLE_1) | instskip(SKIP_2) | instid1(SALU_CYCLE_1)
	s_or_b32 s15, s1, s15
	s_and_not1_b32 s1, s16, exec_lo
	s_and_b32 s0, s0, exec_lo
	s_or_b32 s16, s1, s0
	s_and_not1_b32 exec_lo, exec_lo, s15
	s_cbranch_execz .LBB3_263
.LBB3_261:                              ;   Parent Loop BB3_160 Depth=1
                                        ; =>  This Inner Loop Header: Depth=2
	flat_load_b32 v3, v[0:1]
	s_or_b32 s17, s17, exec_lo
	s_or_b32 s18, s18, exec_lo
	s_mov_b32 s19, exec_lo
	s_waitcnt vmcnt(0) lgkmcnt(0)
	v_lshrrev_b32_e32 v5, 2, v3
	s_delay_alu instid0(VALU_DEP_1) | instskip(NEXT) | instid1(VALU_DEP_1)
	v_xor_b32_e32 v3, v5, v3
	v_and_b32_e32 v3, 0x33333333, v3
	s_delay_alu instid0(VALU_DEP_1)
	v_cmpx_eq_u32_e32 0, v3
	s_cbranch_execz .LBB3_260
; %bb.262:                              ;   in Loop: Header=BB3_261 Depth=2
	v_add_nc_u32_e32 v2, -1, v2
	v_add_co_u32 v0, s1, v0, 4
	s_delay_alu instid0(VALU_DEP_1) | instskip(NEXT) | instid1(VALU_DEP_3)
	v_add_co_ci_u32_e64 v1, s1, 0, v1, s1
	v_cmp_eq_u32_e64 s0, 0, v2
	s_and_not1_b32 s1, s18, exec_lo
	s_and_not1_b32 s17, s17, exec_lo
	s_delay_alu instid0(VALU_DEP_1) | instskip(NEXT) | instid1(SALU_CYCLE_1)
	s_and_b32 s0, s0, exec_lo
	s_or_b32 s18, s1, s0
	s_branch .LBB3_260
.LBB3_263:                              ;   in Loop: Header=BB3_160 Depth=1
	s_set_inst_prefetch_distance 0x2
	s_or_b32 exec_lo, exec_lo, s15
	s_mov_b32 s15, 2
	s_mov_b32 s1, -1
	s_or_not1_b32 s0, s16, exec_lo
.LBB3_264:                              ;   in Loop: Header=BB3_160 Depth=1
	s_or_b32 exec_lo, exec_lo, s13
	s_delay_alu instid0(SALU_CYCLE_1) | instskip(SKIP_1) | instid1(SALU_CYCLE_1)
	s_and_not1_b32 s13, s12, exec_lo
	s_and_b32 s0, s0, exec_lo
	s_or_b32 s13, s13, s0
.LBB3_265:                              ;   in Loop: Header=BB3_160 Depth=1
	s_or_saveexec_b32 s16, s10
	s_mov_b32 s10, 0
	s_mov_b32 s0, s14
	s_xor_b32 exec_lo, exec_lo, s16
; %bb.266:                              ;   in Loop: Header=BB3_160 Depth=1
	v_cmp_ne_u32_e64 s0, 1, v4
	s_and_not1_b32 s1, s14, exec_lo
	s_mov_b32 s10, exec_lo
                                        ; implicit-def: $sgpr15
	s_delay_alu instid0(VALU_DEP_1) | instskip(NEXT) | instid1(SALU_CYCLE_1)
	s_and_b32 s0, s0, exec_lo
	s_or_b32 s0, s1, s0
                                        ; implicit-def: $sgpr1
; %bb.267:                              ;   in Loop: Header=BB3_160 Depth=1
	s_or_b32 exec_lo, exec_lo, s16
	s_delay_alu instid0(SALU_CYCLE_1)
	s_and_not1_b32 s11, s11, exec_lo
	s_and_b32 s1, s1, exec_lo
	v_mov_b32_e32 v53, s15
	s_and_not1_b32 s12, s12, exec_lo
	s_and_b32 s13, s13, exec_lo
	s_or_b32 s11, s11, s1
	s_and_not1_b32 s1, s14, exec_lo
	s_and_b32 s0, s0, exec_lo
	s_or_b32 s12, s12, s13
	s_and_b32 s10, s10, exec_lo
	s_or_b32 s14, s1, s0
	s_or_b32 exec_lo, exec_lo, s2
	s_and_saveexec_b32 s13, s14
	s_cbranch_execz .LBB3_226
.LBB3_268:                              ;   in Loop: Header=BB3_160 Depth=1
	s_mov_b32 s0, -1
                                        ; implicit-def: $sgpr1
	s_and_saveexec_b32 s14, vcc_lo
	s_cbranch_execz .LBB3_280
; %bb.269:                              ;   in Loop: Header=BB3_160 Depth=1
	v_add_nc_u32_e32 v5, -6, v4
	v_dual_mov_b32 v7, v56 :: v_dual_mov_b32 v8, v57
	s_mov_b32 s15, 0
                                        ; implicit-def: $sgpr16
                                        ; implicit-def: $sgpr17
	s_delay_alu instid0(VALU_DEP_2) | instskip(SKIP_2) | instid1(VALU_DEP_3)
	v_lshlrev_b32_e64 v2, v5, 1
	v_lshlrev_b32_e64 v0, v5, 2
	v_cmp_ne_u32_e64 s0, 31, v5
	v_ashrrev_i32_e32 v3, 31, v2
	s_delay_alu instid0(VALU_DEP_3) | instskip(SKIP_1) | instid1(VALU_DEP_3)
	v_ashrrev_i32_e32 v1, 31, v0
	v_max_i32_e32 v11, 1, v2
	v_lshlrev_b64 v[2:3], 2, v[2:3]
	s_delay_alu instid0(VALU_DEP_3)
	v_lshlrev_b64 v[5:6], 2, v[0:1]
	v_mov_b32_e32 v1, 0
	s_branch .LBB3_271
.LBB3_270:                              ;   in Loop: Header=BB3_271 Depth=2
	s_or_b32 exec_lo, exec_lo, s19
	s_xor_b32 s1, s20, -1
	s_and_b32 s2, exec_lo, s18
	s_delay_alu instid0(SALU_CYCLE_1)
	s_or_b32 s15, s2, s15
	s_and_not1_b32 s2, s17, exec_lo
	s_and_b32 s17, s20, exec_lo
	s_and_not1_b32 s16, s16, exec_lo
	s_and_b32 s1, s1, exec_lo
	s_or_b32 s17, s2, s17
	s_or_b32 s16, s16, s1
	s_and_not1_b32 exec_lo, exec_lo, s15
	s_cbranch_execz .LBB3_279
.LBB3_271:                              ;   Parent Loop BB3_160 Depth=1
                                        ; =>  This Loop Header: Depth=2
                                        ;       Child Loop BB3_274 Depth 3
	s_mov_b32 s18, -1
	s_mov_b32 s1, -1
                                        ; implicit-def: $sgpr20
	s_and_saveexec_b32 s19, s0
	s_cbranch_execz .LBB3_277
; %bb.272:                              ;   in Loop: Header=BB3_271 Depth=2
	v_dual_mov_b32 v10, v8 :: v_dual_mov_b32 v9, v7
	v_mov_b32_e32 v12, v11
	s_mov_b32 s20, 0
                                        ; implicit-def: $sgpr21
                                        ; implicit-def: $sgpr23
                                        ; implicit-def: $sgpr22
	s_set_inst_prefetch_distance 0x1
	s_branch .LBB3_274
	.p2align	6
.LBB3_273:                              ;   in Loop: Header=BB3_274 Depth=3
	s_or_b32 exec_lo, exec_lo, s24
	s_xor_b32 s1, s22, -1
	s_and_b32 s2, exec_lo, s23
	s_delay_alu instid0(SALU_CYCLE_1) | instskip(SKIP_2) | instid1(SALU_CYCLE_1)
	s_or_b32 s20, s2, s20
	s_and_not1_b32 s2, s21, exec_lo
	s_and_b32 s1, s1, exec_lo
	s_or_b32 s21, s2, s1
	s_and_not1_b32 exec_lo, exec_lo, s20
	s_cbranch_execz .LBB3_276
.LBB3_274:                              ;   Parent Loop BB3_160 Depth=1
                                        ;     Parent Loop BB3_271 Depth=2
                                        ; =>    This Inner Loop Header: Depth=3
	v_add_co_u32 v13, s1, v9, v2
	s_delay_alu instid0(VALU_DEP_1)
	v_add_co_ci_u32_e64 v14, s1, v10, v3, s1
	s_or_b32 s22, s22, exec_lo
	s_or_b32 s23, s23, exec_lo
	s_clause 0x1
	flat_load_b32 v15, v[9:10]
	flat_load_b32 v13, v[13:14]
	s_mov_b32 s24, exec_lo
	s_waitcnt vmcnt(0) lgkmcnt(0)
	v_cmpx_eq_u32_e64 v15, v13
	s_cbranch_execz .LBB3_273
; %bb.275:                              ;   in Loop: Header=BB3_274 Depth=3
	v_add_nc_u32_e32 v12, -1, v12
	v_add_co_u32 v9, s2, v9, 4
	s_delay_alu instid0(VALU_DEP_1) | instskip(NEXT) | instid1(VALU_DEP_3)
	v_add_co_ci_u32_e64 v10, s2, 0, v10, s2
	v_cmp_eq_u32_e64 s1, 0, v12
	s_and_not1_b32 s2, s23, exec_lo
	s_and_not1_b32 s22, s22, exec_lo
	s_delay_alu instid0(VALU_DEP_1) | instskip(NEXT) | instid1(SALU_CYCLE_1)
	s_and_b32 s1, s1, exec_lo
	s_or_b32 s23, s2, s1
	s_branch .LBB3_273
.LBB3_276:                              ;   in Loop: Header=BB3_271 Depth=2
	s_set_inst_prefetch_distance 0x2
	s_or_b32 exec_lo, exec_lo, s20
	s_mov_b32 s20, -1
	s_or_not1_b32 s1, s21, exec_lo
.LBB3_277:                              ;   in Loop: Header=BB3_271 Depth=2
	s_or_b32 exec_lo, exec_lo, s19
	s_and_saveexec_b32 s19, s1
	s_cbranch_execz .LBB3_270
; %bb.278:                              ;   in Loop: Header=BB3_271 Depth=2
	v_add_nc_u32_e32 v1, v1, v0
	v_add_co_u32 v7, s2, v7, v5
	s_delay_alu instid0(VALU_DEP_1) | instskip(NEXT) | instid1(VALU_DEP_3)
	v_add_co_ci_u32_e64 v8, s2, v8, v6, s2
	v_cmp_ge_i32_e64 s1, v1, v73
	s_and_not1_b32 s20, s20, exec_lo
	s_delay_alu instid0(VALU_DEP_1)
	s_or_not1_b32 s18, s1, exec_lo
	s_branch .LBB3_270
.LBB3_279:                              ;   in Loop: Header=BB3_160 Depth=1
	s_or_b32 exec_lo, exec_lo, s15
	s_delay_alu instid0(SALU_CYCLE_1)
	s_and_b32 s1, s17, exec_lo
	s_or_not1_b32 s0, s16, exec_lo
.LBB3_280:                              ;   in Loop: Header=BB3_160 Depth=1
	s_or_b32 exec_lo, exec_lo, s14
	v_mov_b32_e32 v53, v4
	s_and_not1_b32 s2, s11, exec_lo
	s_and_b32 s1, s1, exec_lo
	s_and_not1_b32 s12, s12, exec_lo
	s_and_b32 s0, s0, exec_lo
	s_or_b32 s11, s2, s1
	s_or_b32 s12, s12, s0
	s_and_not1_b32 s10, s10, exec_lo
	s_or_b32 exec_lo, exec_lo, s13
	s_and_saveexec_b32 s0, s10
	s_delay_alu instid0(SALU_CYCLE_1)
	s_xor_b32 s2, exec_lo, s0
	s_cbranch_execz .LBB3_227
.LBB3_281:                              ;   in Loop: Header=BB3_160 Depth=1
	s_mov_b32 s0, -1
                                        ; implicit-def: $sgpr1
                                        ; implicit-def: $sgpr13
	s_and_saveexec_b32 s10, vcc_lo
	s_cbranch_execz .LBB3_287
; %bb.282:                              ;   in Loop: Header=BB3_160 Depth=1
	v_dual_mov_b32 v0, v56 :: v_dual_mov_b32 v1, v57
	v_mov_b32_e32 v2, v73
	s_mov_b32 s13, 0
                                        ; implicit-def: $sgpr14
                                        ; implicit-def: $sgpr16
                                        ; implicit-def: $sgpr15
	s_set_inst_prefetch_distance 0x1
	s_branch .LBB3_284
	.p2align	6
.LBB3_283:                              ;   in Loop: Header=BB3_284 Depth=2
	s_or_b32 exec_lo, exec_lo, s17
	s_xor_b32 s0, s15, -1
	s_and_b32 s1, exec_lo, s16
	s_delay_alu instid0(SALU_CYCLE_1) | instskip(SKIP_2) | instid1(SALU_CYCLE_1)
	s_or_b32 s13, s1, s13
	s_and_not1_b32 s1, s14, exec_lo
	s_and_b32 s0, s0, exec_lo
	s_or_b32 s14, s1, s0
	s_and_not1_b32 exec_lo, exec_lo, s13
	s_cbranch_execz .LBB3_286
.LBB3_284:                              ;   Parent Loop BB3_160 Depth=1
                                        ; =>  This Inner Loop Header: Depth=2
	flat_load_b32 v3, v[0:1]
	s_or_b32 s15, s15, exec_lo
	s_or_b32 s16, s16, exec_lo
	s_mov_b32 s17, exec_lo
	s_waitcnt vmcnt(0) lgkmcnt(0)
	v_lshrrev_b32_e32 v5, 1, v3
	s_delay_alu instid0(VALU_DEP_1) | instskip(NEXT) | instid1(VALU_DEP_1)
	v_xor_b32_e32 v3, v5, v3
	v_and_b32_e32 v3, 0x55555555, v3
	s_delay_alu instid0(VALU_DEP_1)
	v_cmpx_eq_u32_e32 0, v3
	s_cbranch_execz .LBB3_283
; %bb.285:                              ;   in Loop: Header=BB3_284 Depth=2
	v_add_nc_u32_e32 v2, -1, v2
	v_add_co_u32 v0, s1, v0, 4
	s_delay_alu instid0(VALU_DEP_1) | instskip(NEXT) | instid1(VALU_DEP_3)
	v_add_co_ci_u32_e64 v1, s1, 0, v1, s1
	v_cmp_eq_u32_e64 s0, 0, v2
	s_and_not1_b32 s1, s16, exec_lo
	s_and_not1_b32 s15, s15, exec_lo
	s_delay_alu instid0(VALU_DEP_1) | instskip(NEXT) | instid1(SALU_CYCLE_1)
	s_and_b32 s0, s0, exec_lo
	s_or_b32 s16, s1, s0
	s_branch .LBB3_283
.LBB3_286:                              ;   in Loop: Header=BB3_160 Depth=1
	s_set_inst_prefetch_distance 0x2
	s_or_b32 exec_lo, exec_lo, s13
	s_mov_b32 s13, 1
	s_mov_b32 s1, -1
	s_or_not1_b32 s0, s14, exec_lo
.LBB3_287:                              ;   in Loop: Header=BB3_160 Depth=1
	s_or_b32 exec_lo, exec_lo, s10
	s_delay_alu instid0(SALU_CYCLE_1)
	s_and_not1_b32 s10, s11, exec_lo
	s_and_b32 s1, s1, exec_lo
	s_and_not1_b32 s12, s12, exec_lo
	s_and_b32 s0, s0, exec_lo
	v_mov_b32_e32 v53, s13
	s_or_b32 s11, s10, s1
	s_or_b32 s12, s12, s0
	s_or_b32 exec_lo, exec_lo, s2
	s_mov_b32 s0, -1
	s_and_saveexec_b32 s1, s12
	s_cbranch_execz .LBB3_158
.LBB3_288:                              ;   in Loop: Header=BB3_160 Depth=1
	v_cmp_gt_i32_e64 s0, 2, v4
	s_and_not1_b32 s11, s11, exec_lo
                                        ; implicit-def: $vgpr53
	s_delay_alu instid0(VALU_DEP_1)
	s_or_not1_b32 s0, s0, exec_lo
	s_branch .LBB3_158
.LBB3_289:
	s_or_b32 exec_lo, exec_lo, s5
	s_delay_alu instid0(SALU_CYCLE_1)
	s_mov_b32 s17, exec_lo
	s_and_b32 s55, vcc_lo, exec_lo
	s_or_not1_b32 s0, s4, exec_lo
	s_or_b32 exec_lo, exec_lo, s3
	s_mov_b32 s54, s43
	s_and_saveexec_b32 s20, s0
	s_cbranch_execz .LBB3_156
.LBB3_290:
	s_getpc_b64 s[0:1]
	s_add_u32 s0, s0, .str.21@rel32@lo+4
	s_addc_u32 s1, s1, .str.21@rel32@hi+12
	s_getpc_b64 s[2:3]
	s_add_u32 s2, s2, .str.16@rel32@lo+4
	s_addc_u32 s3, s3, .str.16@rel32@hi+12
	s_getpc_b64 s[4:5]
	s_add_u32 s4, s4, __PRETTY_FUNCTION__._ZN3sop13minatoIsopRecEPKjS1_iPNS_3SopEP7VecsMemIjLi8192EE@rel32@lo+4
	s_addc_u32 s5, s5, __PRETTY_FUNCTION__._ZN3sop13minatoIsopRecEPKjS1_iPNS_3SopEP7VecsMemIjLi8192EE@rel32@hi+12
	v_dual_mov_b32 v0, s0 :: v_dual_mov_b32 v1, s1
	v_dual_mov_b32 v2, s2 :: v_dual_mov_b32 v3, s3
	;; [unrolled: 1-line block ×3, first 2 shown]
	v_mov_b32_e32 v6, s5
	s_getpc_b64 s[6:7]
	s_add_u32 s6, s6, __assert_fail@rel32@lo+4
	s_addc_u32 s7, s7, __assert_fail@rel32@hi+12
	s_mov_b64 s[18:19], s[8:9]
	s_swappc_b64 s[30:31], s[6:7]
	s_mov_b64 s[8:9], s[18:19]
	s_or_b32 s54, s43, exec_lo
	s_and_not1_b32 s17, s17, exec_lo
	s_or_b32 exec_lo, exec_lo, s20
	s_mov_b32 s0, 0
	s_and_saveexec_b32 s56, s17
	s_cbranch_execz .LBB3_493
.LBB3_291:
	s_mov_b32 s57, 0
	s_mov_b32 s58, s54
	s_mov_b32 s0, exec_lo
	v_cmpx_lt_i32_e32 5, v53
	s_xor_b32 s37, exec_lo, s0
	s_cbranch_execz .LBB3_487
; %bb.292:
	v_add_nc_u32_e32 v78, -6, v53
	s_delay_alu instid0(VALU_DEP_1) | instskip(SKIP_1) | instid1(VALU_DEP_2)
	v_lshlrev_b32_e64 v76, v78, 1
	v_cmp_ne_u32_e64 s36, 31, v78
	v_ashrrev_i32_e32 v77, 31, v76
	s_delay_alu instid0(VALU_DEP_1) | instskip(NEXT) | instid1(VALU_DEP_3)
	v_lshlrev_b64 v[74:75], 2, v[76:77]
	s_and_saveexec_b32 s1, s36
	s_cbranch_execz .LBB3_295
; %bb.293:
	v_dual_mov_b32 v1, 0 :: v_dual_add_nc_u32 v0, -1, v76
	v_add_nc_u32_e32 v6, 1, v76
	s_mov_b32 s2, 0
	s_delay_alu instid0(VALU_DEP_2) | instskip(NEXT) | instid1(VALU_DEP_1)
	v_lshlrev_b64 v[4:5], 2, v[0:1]
	v_add_co_u32 v2, vcc_lo, v74, v4
	s_delay_alu instid0(VALU_DEP_2) | instskip(SKIP_2) | instid1(VALU_DEP_4)
	v_add_co_ci_u32_e32 v3, vcc_lo, v75, v5, vcc_lo
	v_add_co_u32 v0, vcc_lo, v41, v4
	v_add_co_ci_u32_e32 v1, vcc_lo, v42, v5, vcc_lo
	v_add_co_u32 v2, vcc_lo, v56, v2
	s_delay_alu instid0(VALU_DEP_4)
	v_add_co_ci_u32_e32 v3, vcc_lo, v57, v3, vcc_lo
	v_add_co_u32 v4, vcc_lo, v58, v4
	v_add_co_ci_u32_e32 v5, vcc_lo, v59, v5, vcc_lo
	.p2align	6
.LBB3_294:                              ; =>This Inner Loop Header: Depth=1
	flat_load_b32 v7, v[2:3]
	flat_load_b32 v8, v[4:5]
	v_add_co_u32 v2, vcc_lo, v2, -4
	v_add_nc_u32_e32 v6, -1, v6
	v_add_co_ci_u32_e32 v3, vcc_lo, -1, v3, vcc_lo
	v_add_co_u32 v4, vcc_lo, v4, -4
	v_add_co_ci_u32_e32 v5, vcc_lo, -1, v5, vcc_lo
	s_delay_alu instid0(VALU_DEP_4) | instskip(SKIP_4) | instid1(VALU_DEP_1)
	v_cmp_gt_u32_e32 vcc_lo, 2, v6
	s_or_b32 s2, vcc_lo, s2
	s_waitcnt vmcnt(1) lgkmcnt(1)
	v_not_b32_e32 v7, v7
	s_waitcnt vmcnt(0) lgkmcnt(0)
	v_and_b32_e32 v7, v8, v7
	flat_store_b32 v[0:1], v7
	v_add_co_u32 v0, s0, v0, -4
	s_delay_alu instid0(VALU_DEP_1)
	v_add_co_ci_u32_e64 v1, s0, -1, v1, s0
	s_and_not1_b32 exec_lo, exec_lo, s2
	s_cbranch_execnz .LBB3_294
.LBB3_295:
	s_or_b32 exec_lo, exec_lo, s1
	s_mov_b64 s[0:1], src_private_base
	s_getpc_b64 s[2:3]
	s_add_u32 s2, s2, _ZN3sop13minatoIsopRecEPKjS1_iPNS_3SopEP7VecsMemIjLi8192EE@rel32@lo+4
	s_addc_u32 s3, s3, _ZN3sop13minatoIsopRecEPKjS1_iPNS_3SopEP7VecsMemIjLi8192EE@rel32@hi+12
	s_add_i32 s0, s33, 0x60
	v_dual_mov_b32 v0, v41 :: v_dual_mov_b32 v1, v42
	v_dual_mov_b32 v2, v56 :: v_dual_mov_b32 v3, v57
	;; [unrolled: 1-line block ×4, first 2 shown]
	v_mov_b32_e32 v8, v44
	s_mov_b64 s[34:35], s[8:9]
	s_swappc_b64 s[30:31], s[2:3]
	v_dual_mov_b32 v60, v0 :: v_dual_mov_b32 v61, v1
	s_and_saveexec_b32 s1, s36
	s_cbranch_execz .LBB3_298
; %bb.296:
	v_dual_mov_b32 v1, 0 :: v_dual_add_nc_u32 v0, -1, v76
	v_add_nc_u32_e32 v6, 1, v76
	s_mov_b32 s2, 0
	s_delay_alu instid0(VALU_DEP_2) | instskip(NEXT) | instid1(VALU_DEP_1)
	v_lshlrev_b64 v[0:1], 2, v[0:1]
	v_add_co_u32 v4, vcc_lo, v74, v0
	s_delay_alu instid0(VALU_DEP_2) | instskip(SKIP_2) | instid1(VALU_DEP_4)
	v_add_co_ci_u32_e32 v5, vcc_lo, v75, v1, vcc_lo
	v_add_co_u32 v0, vcc_lo, v56, v0
	v_add_co_ci_u32_e32 v1, vcc_lo, v57, v1, vcc_lo
	v_add_co_u32 v2, vcc_lo, v41, v4
	s_delay_alu instid0(VALU_DEP_4)
	v_add_co_ci_u32_e32 v3, vcc_lo, v42, v5, vcc_lo
	v_add_co_u32 v4, vcc_lo, v58, v4
	v_add_co_ci_u32_e32 v5, vcc_lo, v59, v5, vcc_lo
	.p2align	6
.LBB3_297:                              ; =>This Inner Loop Header: Depth=1
	flat_load_b32 v7, v[0:1]
	flat_load_b32 v8, v[4:5]
	v_add_co_u32 v0, vcc_lo, v0, -4
	v_add_nc_u32_e32 v6, -1, v6
	v_add_co_ci_u32_e32 v1, vcc_lo, -1, v1, vcc_lo
	v_add_co_u32 v4, vcc_lo, v4, -4
	v_add_co_ci_u32_e32 v5, vcc_lo, -1, v5, vcc_lo
	s_delay_alu instid0(VALU_DEP_4) | instskip(SKIP_4) | instid1(VALU_DEP_1)
	v_cmp_gt_u32_e32 vcc_lo, 2, v6
	s_or_b32 s2, vcc_lo, s2
	s_waitcnt vmcnt(1) lgkmcnt(1)
	v_not_b32_e32 v7, v7
	s_waitcnt vmcnt(0) lgkmcnt(0)
	v_and_b32_e32 v7, v8, v7
	flat_store_b32 v[2:3], v7
	v_add_co_u32 v2, s0, v2, -4
	s_delay_alu instid0(VALU_DEP_1)
	v_add_co_ci_u32_e64 v3, s0, -1, v3, s0
	s_and_not1_b32 exec_lo, exec_lo, s2
	s_cbranch_execnz .LBB3_297
.LBB3_298:
	s_or_b32 exec_lo, exec_lo, s1
	v_add_co_u32 v2, vcc_lo, v56, v74
	v_add_co_ci_u32_e32 v3, vcc_lo, v57, v75, vcc_lo
	v_add_co_u32 v40, vcc_lo, v41, v74
	v_add_co_ci_u32_e32 v72, vcc_lo, v42, v75, vcc_lo
	s_mov_b64 s[0:1], src_private_base
	s_getpc_b64 s[2:3]
	s_add_u32 s2, s2, _ZN3sop13minatoIsopRecEPKjS1_iPNS_3SopEP7VecsMemIjLi8192EE@rel32@lo+4
	s_addc_u32 s3, s3, _ZN3sop13minatoIsopRecEPKjS1_iPNS_3SopEP7VecsMemIjLi8192EE@rel32@hi+12
	s_add_i32 s0, s33, 0x70
	s_delay_alu instid0(SALU_CYCLE_1)
	v_dual_mov_b32 v0, v40 :: v_dual_mov_b32 v5, s0
	v_dual_mov_b32 v1, v72 :: v_dual_mov_b32 v4, v47
	;; [unrolled: 1-line block ×3, first 2 shown]
	v_mov_b32_e32 v8, v44
	s_mov_b64 s[8:9], s[34:35]
	s_swappc_b64 s[30:31], s[2:3]
	v_dual_mov_b32 v62, v0 :: v_dual_mov_b32 v63, v1
	s_and_saveexec_b32 s1, s36
	s_cbranch_execz .LBB3_307
; %bb.299:
	v_dual_mov_b32 v1, 0 :: v_dual_add_nc_u32 v0, -1, v76
	s_mov_b32 s2, 0
	s_delay_alu instid0(VALU_DEP_1) | instskip(NEXT) | instid1(VALU_DEP_1)
	v_lshlrev_b64 v[0:1], 2, v[0:1]
	v_add_co_u32 v2, vcc_lo, v41, v0
	s_delay_alu instid0(VALU_DEP_2) | instskip(SKIP_2) | instid1(VALU_DEP_3)
	v_add_co_ci_u32_e32 v3, vcc_lo, v42, v1, vcc_lo
	v_add_nc_u32_e32 v12, 1, v76
	v_add_co_u32 v4, vcc_lo, v60, v0
	v_mov_b32_e32 v9, v3
	v_add_co_ci_u32_e32 v5, vcc_lo, v61, v1, vcc_lo
	v_add_co_u32 v6, vcc_lo, v58, v0
	v_add_co_ci_u32_e32 v7, vcc_lo, v59, v1, vcc_lo
	v_mov_b32_e32 v8, v2
	v_mov_b32_e32 v10, v12
	.p2align	6
.LBB3_300:                              ; =>This Inner Loop Header: Depth=1
	flat_load_b32 v11, v[4:5]
	flat_load_b32 v13, v[6:7]
	v_add_co_u32 v4, vcc_lo, v4, -4
	v_add_nc_u32_e32 v10, -1, v10
	v_add_co_ci_u32_e32 v5, vcc_lo, -1, v5, vcc_lo
	v_add_co_u32 v6, vcc_lo, v6, -4
	v_add_co_ci_u32_e32 v7, vcc_lo, -1, v7, vcc_lo
	s_delay_alu instid0(VALU_DEP_4) | instskip(SKIP_4) | instid1(VALU_DEP_1)
	v_cmp_gt_u32_e32 vcc_lo, 2, v10
	s_or_b32 s2, vcc_lo, s2
	s_waitcnt vmcnt(1) lgkmcnt(1)
	v_not_b32_e32 v11, v11
	s_waitcnt vmcnt(0) lgkmcnt(0)
	v_and_b32_e32 v11, v13, v11
	flat_store_b32 v[8:9], v11
	v_add_co_u32 v8, s0, v8, -4
	s_delay_alu instid0(VALU_DEP_1)
	v_add_co_ci_u32_e64 v9, s0, -1, v9, s0
	s_and_not1_b32 exec_lo, exec_lo, s2
	s_cbranch_execnz .LBB3_300
; %bb.301:
	s_or_b32 exec_lo, exec_lo, s2
	v_add_co_u32 v8, vcc_lo, v74, v0
	v_add_co_ci_u32_e32 v9, vcc_lo, v75, v1, vcc_lo
	v_mov_b32_e32 v13, v12
	s_delay_alu instid0(VALU_DEP_3) | instskip(NEXT) | instid1(VALU_DEP_3)
	v_add_co_u32 v4, vcc_lo, v41, v8
	v_add_co_ci_u32_e32 v5, vcc_lo, v42, v9, vcc_lo
	v_add_co_u32 v6, vcc_lo, v62, v0
	v_add_co_ci_u32_e32 v7, vcc_lo, v63, v1, vcc_lo
	;; [unrolled: 2-line block ×3, first 2 shown]
	v_dual_mov_b32 v11, v5 :: v_dual_mov_b32 v10, v4
	s_mov_b32 s2, 0
	.p2align	6
.LBB3_302:                              ; =>This Inner Loop Header: Depth=1
	flat_load_b32 v14, v[6:7]
	flat_load_b32 v15, v[8:9]
	v_add_co_u32 v6, vcc_lo, v6, -4
	v_add_nc_u32_e32 v13, -1, v13
	v_add_co_ci_u32_e32 v7, vcc_lo, -1, v7, vcc_lo
	v_add_co_u32 v8, vcc_lo, v8, -4
	v_add_co_ci_u32_e32 v9, vcc_lo, -1, v9, vcc_lo
	s_delay_alu instid0(VALU_DEP_4) | instskip(SKIP_4) | instid1(VALU_DEP_1)
	v_cmp_gt_u32_e32 vcc_lo, 2, v13
	s_or_b32 s2, vcc_lo, s2
	s_waitcnt vmcnt(1) lgkmcnt(1)
	v_not_b32_e32 v14, v14
	s_waitcnt vmcnt(0) lgkmcnt(0)
	v_and_b32_e32 v14, v15, v14
	flat_store_b32 v[10:11], v14
	v_add_co_u32 v10, s0, v10, -4
	s_delay_alu instid0(VALU_DEP_1)
	v_add_co_ci_u32_e64 v11, s0, -1, v11, s0
	s_and_not1_b32 exec_lo, exec_lo, s2
	s_cbranch_execnz .LBB3_302
; %bb.303:
	s_or_b32 exec_lo, exec_lo, s2
	v_mov_b32_e32 v6, v12
	s_mov_b32 s2, 0
	.p2align	6
.LBB3_304:                              ; =>This Inner Loop Header: Depth=1
	s_delay_alu instid0(VALU_DEP_2) | instskip(NEXT) | instid1(VALU_DEP_2)
	v_add_co_u32 v7, vcc_lo, v2, v74
	v_add_co_ci_u32_e32 v8, vcc_lo, v3, v75, vcc_lo
	s_delay_alu instid0(VALU_DEP_3)
	v_add_nc_u32_e32 v6, -1, v6
	s_clause 0x1
	flat_load_b32 v9, v[2:3]
	flat_load_b32 v7, v[7:8]
	v_cmp_gt_u32_e32 vcc_lo, 2, v6
	s_or_b32 s2, vcc_lo, s2
	s_waitcnt vmcnt(0) lgkmcnt(0)
	v_or_b32_e32 v7, v7, v9
	flat_store_b32 v[2:3], v7
	v_add_co_u32 v2, s0, v2, -4
	s_delay_alu instid0(VALU_DEP_1)
	v_add_co_ci_u32_e64 v3, s0, -1, v3, s0
	s_and_not1_b32 exec_lo, exec_lo, s2
	s_cbranch_execnz .LBB3_304
; %bb.305:
	s_or_b32 exec_lo, exec_lo, s2
	v_add_co_u32 v0, vcc_lo, v56, v0
	v_add_co_ci_u32_e32 v1, vcc_lo, v57, v1, vcc_lo
	s_mov_b32 s2, 0
	.p2align	6
.LBB3_306:                              ; =>This Inner Loop Header: Depth=1
	s_delay_alu instid0(VALU_DEP_2) | instskip(NEXT) | instid1(VALU_DEP_2)
	v_add_co_u32 v2, vcc_lo, v0, v74
	v_add_co_ci_u32_e32 v3, vcc_lo, v1, v75, vcc_lo
	v_add_nc_u32_e32 v12, -1, v12
	s_clause 0x1
	flat_load_b32 v6, v[0:1]
	flat_load_b32 v2, v[2:3]
	v_add_co_u32 v0, vcc_lo, v0, -4
	v_add_co_ci_u32_e32 v1, vcc_lo, -1, v1, vcc_lo
	v_cmp_gt_u32_e32 vcc_lo, 2, v12
	s_or_b32 s2, vcc_lo, s2
	s_waitcnt vmcnt(0) lgkmcnt(0)
	v_and_b32_e32 v2, v2, v6
	flat_store_b32 v[4:5], v2
	v_add_co_u32 v4, s0, v4, -4
	s_delay_alu instid0(VALU_DEP_1)
	v_add_co_ci_u32_e64 v5, s0, -1, v5, s0
	s_and_not1_b32 exec_lo, exec_lo, s2
	s_cbranch_execnz .LBB3_306
.LBB3_307:
	s_or_b32 exec_lo, exec_lo, s1
	s_mov_b64 s[0:1], src_private_base
	s_getpc_b64 s[2:3]
	s_add_u32 s2, s2, _ZN3sop13minatoIsopRecEPKjS1_iPNS_3SopEP7VecsMemIjLi8192EE@rel32@lo+4
	s_addc_u32 s3, s3, _ZN3sop13minatoIsopRecEPKjS1_iPNS_3SopEP7VecsMemIjLi8192EE@rel32@hi+12
	s_add_i32 s0, s33, 0x80
	v_dual_mov_b32 v0, v41 :: v_dual_mov_b32 v1, v42
	v_dual_mov_b32 v2, v40 :: v_dual_mov_b32 v5, s0
	;; [unrolled: 1-line block ×4, first 2 shown]
	v_mov_b32_e32 v8, v44
	s_mov_b64 s[8:9], s[34:35]
	s_swappc_b64 s[30:31], s[2:3]
	s_clause 0x2
	scratch_load_b64 v[67:68], off, s33 offset:96
	scratch_load_b64 v[64:65], off, s33 offset:112
	;; [unrolled: 1-line block ×3, first 2 shown]
	s_mov_b32 s17, 0
	s_mov_b32 s0, -1
	s_mov_b32 s20, s54
	s_mov_b32 s18, exec_lo
	s_waitcnt vmcnt(1)
	v_add_nc_u32_e32 v2, v65, v68
	s_delay_alu instid0(VALU_DEP_1)
	v_add_nc_u32_e32 v4, v2, v67
	v_mov_b32_e32 v66, 0
	v_mov_b32_e32 v67, 0
	s_waitcnt vmcnt(0)
	v_add_nc_u32_e32 v3, v2, v54
	v_add3_u32 v2, v4, v64, v53
	flat_store_b64 v[45:46], v[2:3]
	v_cmpx_lt_i32_e32 0, v3
	s_cbranch_execz .LBB3_453
; %bb.308:
	flat_load_b32 v2, v[43:44]
	v_mov_b32_e32 v66, 0
	s_mov_b32 s19, 0
	s_mov_b32 s0, exec_lo
	s_waitcnt vmcnt(0) lgkmcnt(0)
	v_dual_mov_b32 v67, 0 :: v_dual_add_nc_u32 v4, v2, v3
	s_delay_alu instid0(VALU_DEP_1)
	v_cmpx_gt_i32_e32 0x2001, v4
	s_xor_b32 s0, exec_lo, s0
	s_cbranch_execz .LBB3_310
; %bb.309:
	v_ashrrev_i32_e32 v5, 31, v4
	v_dual_mov_b32 v7, 0 :: v_dual_mov_b32 v6, v3
	s_mov_b32 s19, exec_lo
	flat_store_b32 v[43:44], v4
	v_lshlrev_b64 v[2:3], 2, v[4:5]
	v_lshlrev_b64 v[5:6], 2, v[6:7]
	s_delay_alu instid0(VALU_DEP_2) | instskip(NEXT) | instid1(VALU_DEP_3)
	v_add_co_u32 v2, vcc_lo, v43, v2
	v_add_co_ci_u32_e32 v3, vcc_lo, v44, v3, vcc_lo
	s_delay_alu instid0(VALU_DEP_2) | instskip(NEXT) | instid1(VALU_DEP_2)
	v_sub_co_u32 v2, vcc_lo, v2, v5
	v_sub_co_ci_u32_e32 v3, vcc_lo, v3, v6, vcc_lo
	s_delay_alu instid0(VALU_DEP_2) | instskip(NEXT) | instid1(VALU_DEP_2)
	v_add_co_u32 v66, vcc_lo, v2, 4
	v_add_co_ci_u32_e32 v67, vcc_lo, 0, v3, vcc_lo
.LBB3_310:
	s_or_saveexec_b32 s20, s0
	s_mov_b32 s0, s54
	s_xor_b32 exec_lo, exec_lo, s20
	s_cbranch_execz .LBB3_452
; %bb.311:
	s_load_b64 s[2:3], s[34:35], 0x50
	v_mbcnt_lo_u32_b32 v31, -1, 0
	v_mov_b32_e32 v8, 0
	v_mov_b32_e32 v9, 0
	s_mov_b64 s[8:9], s[34:35]
	s_delay_alu instid0(VALU_DEP_3) | instskip(NEXT) | instid1(VALU_DEP_1)
	v_readfirstlane_b32 s0, v31
	v_cmp_eq_u32_e64 s0, s0, v31
	s_delay_alu instid0(VALU_DEP_1)
	s_and_saveexec_b32 s1, s0
	s_cbranch_execz .LBB3_317
; %bb.312:
	v_mov_b32_e32 v2, 0
	s_mov_b32 s4, exec_lo
	s_waitcnt lgkmcnt(0)
	global_load_b64 v[5:6], v2, s[2:3] offset:24 glc
	s_waitcnt vmcnt(0)
	buffer_gl1_inv
	buffer_gl0_inv
	s_clause 0x1
	global_load_b64 v[3:4], v2, s[2:3] offset:40
	global_load_b64 v[7:8], v2, s[2:3]
	s_waitcnt vmcnt(1)
	v_and_b32_e32 v3, v3, v5
	v_and_b32_e32 v4, v4, v6
	s_delay_alu instid0(VALU_DEP_2) | instskip(NEXT) | instid1(VALU_DEP_2)
	v_mul_hi_u32 v9, v3, 24
	v_mul_lo_u32 v4, v4, 24
	v_mul_lo_u32 v3, v3, 24
	s_delay_alu instid0(VALU_DEP_2) | instskip(SKIP_1) | instid1(VALU_DEP_2)
	v_add_nc_u32_e32 v4, v9, v4
	s_waitcnt vmcnt(0)
	v_add_co_u32 v3, vcc_lo, v7, v3
	s_delay_alu instid0(VALU_DEP_2)
	v_add_co_ci_u32_e32 v4, vcc_lo, v8, v4, vcc_lo
	global_load_b64 v[3:4], v[3:4], off glc
	s_waitcnt vmcnt(0)
	global_atomic_cmpswap_b64 v[8:9], v2, v[3:6], s[2:3] offset:24 glc
	s_waitcnt vmcnt(0)
	buffer_gl1_inv
	buffer_gl0_inv
	v_cmpx_ne_u64_e64 v[8:9], v[5:6]
	s_cbranch_execz .LBB3_316
; %bb.313:
	s_mov_b32 s5, 0
.LBB3_314:                              ; =>This Inner Loop Header: Depth=1
	s_sleep 1
	s_clause 0x1
	global_load_b64 v[3:4], v2, s[2:3] offset:40
	global_load_b64 v[10:11], v2, s[2:3]
	v_dual_mov_b32 v5, v8 :: v_dual_mov_b32 v6, v9
	s_waitcnt vmcnt(1)
	s_delay_alu instid0(VALU_DEP_1) | instskip(NEXT) | instid1(VALU_DEP_2)
	v_and_b32_e32 v3, v3, v5
	v_and_b32_e32 v4, v4, v6
	s_waitcnt vmcnt(0)
	s_delay_alu instid0(VALU_DEP_2) | instskip(NEXT) | instid1(VALU_DEP_1)
	v_mad_u64_u32 v[7:8], null, v3, 24, v[10:11]
	v_mov_b32_e32 v3, v8
	s_delay_alu instid0(VALU_DEP_1)
	v_mad_u64_u32 v[8:9], null, v4, 24, v[3:4]
	global_load_b64 v[3:4], v[7:8], off glc
	s_waitcnt vmcnt(0)
	global_atomic_cmpswap_b64 v[8:9], v2, v[3:6], s[2:3] offset:24 glc
	s_waitcnt vmcnt(0)
	buffer_gl1_inv
	buffer_gl0_inv
	v_cmp_eq_u64_e32 vcc_lo, v[8:9], v[5:6]
	s_or_b32 s5, vcc_lo, s5
	s_delay_alu instid0(SALU_CYCLE_1)
	s_and_not1_b32 exec_lo, exec_lo, s5
	s_cbranch_execnz .LBB3_314
; %bb.315:
	s_or_b32 exec_lo, exec_lo, s5
.LBB3_316:
	s_delay_alu instid0(SALU_CYCLE_1)
	s_or_b32 exec_lo, exec_lo, s4
.LBB3_317:
	s_delay_alu instid0(SALU_CYCLE_1)
	s_or_b32 exec_lo, exec_lo, s1
	v_mov_b32_e32 v7, 0
	v_readfirstlane_b32 s4, v8
	v_readfirstlane_b32 s5, v9
	s_mov_b32 s1, exec_lo
	s_waitcnt lgkmcnt(0)
	s_clause 0x1
	global_load_b64 v[10:11], v7, s[2:3] offset:40
	global_load_b128 v[2:5], v7, s[2:3]
	s_waitcnt vmcnt(1)
	v_readfirstlane_b32 s6, v10
	v_readfirstlane_b32 s7, v11
	s_delay_alu instid0(VALU_DEP_1) | instskip(NEXT) | instid1(SALU_CYCLE_1)
	s_and_b64 s[6:7], s[4:5], s[6:7]
	s_mul_i32 s10, s7, 24
	s_mul_hi_u32 s11, s6, 24
	s_mul_i32 s12, s6, 24
	s_add_i32 s11, s11, s10
	s_waitcnt vmcnt(0)
	v_add_co_u32 v10, vcc_lo, v2, s12
	v_add_co_ci_u32_e32 v11, vcc_lo, s11, v3, vcc_lo
	s_and_saveexec_b32 s10, s0
	s_cbranch_execz .LBB3_319
; %bb.318:
	v_dual_mov_b32 v6, s1 :: v_dual_mov_b32 v9, 1
	v_mov_b32_e32 v8, 2
	global_store_b128 v[10:11], v[6:9], off offset:8
.LBB3_319:
	s_or_b32 exec_lo, exec_lo, s10
	s_lshl_b64 s[6:7], s[6:7], 12
	v_dual_mov_b32 v9, v7 :: v_dual_lshlrev_b32 v30, 6, v31
	v_add_co_u32 v4, vcc_lo, v4, s6
	v_add_co_ci_u32_e32 v5, vcc_lo, s7, v5, vcc_lo
	s_mov_b32 s12, 0
	s_delay_alu instid0(VALU_DEP_2)
	v_add_co_u32 v12, vcc_lo, v4, v30
	s_mov_b32 s15, s12
	s_mov_b32 s13, s12
	;; [unrolled: 1-line block ×3, first 2 shown]
	v_dual_mov_b32 v6, 33 :: v_dual_mov_b32 v17, s15
	v_dual_mov_b32 v8, v7 :: v_dual_mov_b32 v15, s13
	v_readfirstlane_b32 s6, v4
	v_readfirstlane_b32 s7, v5
	v_add_co_ci_u32_e32 v13, vcc_lo, 0, v5, vcc_lo
	v_mov_b32_e32 v16, s14
	v_mov_b32_e32 v14, s12
	s_clause 0x3
	global_store_b128 v30, v[6:9], s[6:7]
	global_store_b128 v30, v[14:17], s[6:7] offset:16
	global_store_b128 v30, v[14:17], s[6:7] offset:32
	;; [unrolled: 1-line block ×3, first 2 shown]
	s_and_saveexec_b32 s1, s0
	s_cbranch_execz .LBB3_327
; %bb.320:
	v_mov_b32_e32 v8, 0
	s_mov_b32 s6, exec_lo
	s_clause 0x1
	global_load_b64 v[16:17], v8, s[2:3] offset:32 glc
	global_load_b64 v[4:5], v8, s[2:3] offset:40
	v_dual_mov_b32 v15, s5 :: v_dual_mov_b32 v14, s4
	s_waitcnt vmcnt(0)
	v_and_b32_e32 v5, s5, v5
	v_and_b32_e32 v4, s4, v4
	s_delay_alu instid0(VALU_DEP_2) | instskip(NEXT) | instid1(VALU_DEP_2)
	v_mul_lo_u32 v5, v5, 24
	v_mul_hi_u32 v6, v4, 24
	v_mul_lo_u32 v4, v4, 24
	s_delay_alu instid0(VALU_DEP_2) | instskip(NEXT) | instid1(VALU_DEP_2)
	v_add_nc_u32_e32 v5, v6, v5
	v_add_co_u32 v6, vcc_lo, v2, v4
	s_delay_alu instid0(VALU_DEP_2)
	v_add_co_ci_u32_e32 v7, vcc_lo, v3, v5, vcc_lo
	global_store_b64 v[6:7], v[16:17], off
	s_waitcnt_vscnt null, 0x0
	global_atomic_cmpswap_b64 v[4:5], v8, v[14:17], s[2:3] offset:32 glc
	s_waitcnt vmcnt(0)
	v_cmpx_ne_u64_e64 v[4:5], v[16:17]
	s_cbranch_execz .LBB3_323
; %bb.321:
	s_mov_b32 s7, 0
.LBB3_322:                              ; =>This Inner Loop Header: Depth=1
	v_dual_mov_b32 v2, s4 :: v_dual_mov_b32 v3, s5
	s_sleep 1
	global_store_b64 v[6:7], v[4:5], off
	s_waitcnt_vscnt null, 0x0
	global_atomic_cmpswap_b64 v[2:3], v8, v[2:5], s[2:3] offset:32 glc
	s_waitcnt vmcnt(0)
	v_cmp_eq_u64_e32 vcc_lo, v[2:3], v[4:5]
	v_dual_mov_b32 v5, v3 :: v_dual_mov_b32 v4, v2
	s_or_b32 s7, vcc_lo, s7
	s_delay_alu instid0(SALU_CYCLE_1)
	s_and_not1_b32 exec_lo, exec_lo, s7
	s_cbranch_execnz .LBB3_322
.LBB3_323:
	s_or_b32 exec_lo, exec_lo, s6
	v_mov_b32_e32 v5, 0
	s_mov_b32 s7, exec_lo
	s_mov_b32 s6, exec_lo
	v_mbcnt_lo_u32_b32 v4, s7, 0
	global_load_b64 v[2:3], v5, s[2:3] offset:16
	v_cmpx_eq_u32_e32 0, v4
	s_cbranch_execz .LBB3_325
; %bb.324:
	s_bcnt1_i32_b32 s7, s7
	s_delay_alu instid0(SALU_CYCLE_1)
	v_mov_b32_e32 v4, s7
	s_waitcnt vmcnt(0)
	global_atomic_add_u64 v[2:3], v[4:5], off offset:8
.LBB3_325:
	s_or_b32 exec_lo, exec_lo, s6
	s_waitcnt vmcnt(0)
	global_load_b64 v[4:5], v[2:3], off offset:16
	s_waitcnt vmcnt(0)
	v_cmp_eq_u64_e32 vcc_lo, 0, v[4:5]
	s_cbranch_vccnz .LBB3_327
; %bb.326:
	global_load_b32 v2, v[2:3], off offset:24
	s_waitcnt vmcnt(0)
	v_dual_mov_b32 v3, 0 :: v_dual_and_b32 v6, 0xffffff, v2
	s_waitcnt_vscnt null, 0x0
	global_store_b64 v[4:5], v[2:3], off
	v_readfirstlane_b32 m0, v6
	s_sendmsg sendmsg(MSG_INTERRUPT)
.LBB3_327:
	s_or_b32 exec_lo, exec_lo, s1
	s_branch .LBB3_331
.LBB3_328:                              ;   in Loop: Header=BB3_331 Depth=1
	s_or_b32 exec_lo, exec_lo, s1
	s_delay_alu instid0(VALU_DEP_1) | instskip(NEXT) | instid1(VALU_DEP_1)
	v_readfirstlane_b32 s1, v2
	s_cmp_eq_u32 s1, 0
	s_cbranch_scc1 .LBB3_330
; %bb.329:                              ;   in Loop: Header=BB3_331 Depth=1
	s_sleep 1
	s_cbranch_execnz .LBB3_331
	s_branch .LBB3_333
.LBB3_330:
	s_branch .LBB3_333
.LBB3_331:                              ; =>This Inner Loop Header: Depth=1
	v_mov_b32_e32 v2, 1
	s_and_saveexec_b32 s1, s0
	s_cbranch_execz .LBB3_328
; %bb.332:                              ;   in Loop: Header=BB3_331 Depth=1
	global_load_b32 v2, v[10:11], off offset:20 glc
	s_waitcnt vmcnt(0)
	buffer_gl1_inv
	buffer_gl0_inv
	v_and_b32_e32 v2, 1, v2
	s_branch .LBB3_328
.LBB3_333:
	global_load_b64 v[2:3], v[12:13], off
	s_and_saveexec_b32 s1, s0
	s_cbranch_execz .LBB3_337
; %bb.334:
	v_mov_b32_e32 v10, 0
	s_clause 0x2
	global_load_b64 v[6:7], v10, s[2:3] offset:40
	global_load_b64 v[11:12], v10, s[2:3] offset:24 glc
	global_load_b64 v[8:9], v10, s[2:3]
	s_waitcnt vmcnt(2)
	v_add_co_u32 v13, vcc_lo, v6, 1
	v_add_co_ci_u32_e32 v14, vcc_lo, 0, v7, vcc_lo
	s_delay_alu instid0(VALU_DEP_2) | instskip(NEXT) | instid1(VALU_DEP_2)
	v_add_co_u32 v4, vcc_lo, v13, s4
	v_add_co_ci_u32_e32 v5, vcc_lo, s5, v14, vcc_lo
	s_delay_alu instid0(VALU_DEP_1) | instskip(SKIP_1) | instid1(VALU_DEP_1)
	v_cmp_eq_u64_e32 vcc_lo, 0, v[4:5]
	v_dual_cndmask_b32 v5, v5, v14 :: v_dual_cndmask_b32 v4, v4, v13
	v_and_b32_e32 v7, v5, v7
	s_delay_alu instid0(VALU_DEP_2) | instskip(NEXT) | instid1(VALU_DEP_2)
	v_and_b32_e32 v6, v4, v6
	v_mul_lo_u32 v7, v7, 24
	s_delay_alu instid0(VALU_DEP_2) | instskip(SKIP_1) | instid1(VALU_DEP_2)
	v_mul_hi_u32 v13, v6, 24
	v_mul_lo_u32 v6, v6, 24
	v_add_nc_u32_e32 v7, v13, v7
	s_waitcnt vmcnt(0)
	s_delay_alu instid0(VALU_DEP_2) | instskip(SKIP_1) | instid1(VALU_DEP_3)
	v_add_co_u32 v8, vcc_lo, v8, v6
	v_mov_b32_e32 v6, v11
	v_add_co_ci_u32_e32 v9, vcc_lo, v9, v7, vcc_lo
	v_mov_b32_e32 v7, v12
	global_store_b64 v[8:9], v[11:12], off
	s_waitcnt_vscnt null, 0x0
	global_atomic_cmpswap_b64 v[6:7], v10, v[4:7], s[2:3] offset:24 glc
	s_waitcnt vmcnt(0)
	v_cmp_ne_u64_e32 vcc_lo, v[6:7], v[11:12]
	s_and_b32 exec_lo, exec_lo, vcc_lo
	s_cbranch_execz .LBB3_337
; %bb.335:
	s_mov_b32 s0, 0
.LBB3_336:                              ; =>This Inner Loop Header: Depth=1
	s_sleep 1
	global_store_b64 v[8:9], v[6:7], off
	s_waitcnt_vscnt null, 0x0
	global_atomic_cmpswap_b64 v[11:12], v10, v[4:7], s[2:3] offset:24 glc
	s_waitcnt vmcnt(0)
	v_cmp_eq_u64_e32 vcc_lo, v[11:12], v[6:7]
	v_dual_mov_b32 v6, v11 :: v_dual_mov_b32 v7, v12
	s_or_b32 s0, vcc_lo, s0
	s_delay_alu instid0(SALU_CYCLE_1)
	s_and_not1_b32 exec_lo, exec_lo, s0
	s_cbranch_execnz .LBB3_336
.LBB3_337:
	s_or_b32 exec_lo, exec_lo, s1
	s_getpc_b64 s[4:5]
	s_add_u32 s4, s4, .str.28@rel32@lo+4
	s_addc_u32 s5, s5, .str.28@rel32@hi+12
	s_delay_alu instid0(SALU_CYCLE_1)
	s_cmp_lg_u64 s[4:5], 0
	s_cbranch_scc0 .LBB3_422
; %bb.338:
	s_waitcnt vmcnt(0)
	v_dual_mov_b32 v9, v3 :: v_dual_and_b32 v8, -3, v2
	v_dual_mov_b32 v5, 0 :: v_dual_mov_b32 v6, 2
	v_mov_b32_e32 v7, 1
	s_mov_b64 s[6:7], 35
	s_branch .LBB3_340
.LBB3_339:                              ;   in Loop: Header=BB3_340 Depth=1
	s_or_b32 exec_lo, exec_lo, s1
	s_sub_u32 s6, s6, s10
	s_subb_u32 s7, s7, s11
	s_add_u32 s4, s4, s10
	s_addc_u32 s5, s5, s11
	s_cmp_lg_u64 s[6:7], 0
	s_cbranch_scc0 .LBB3_421
.LBB3_340:                              ; =>This Loop Header: Depth=1
                                        ;     Child Loop BB3_349 Depth 2
                                        ;     Child Loop BB3_345 Depth 2
	;; [unrolled: 1-line block ×11, first 2 shown]
	v_cmp_lt_u64_e64 s0, s[6:7], 56
	v_cmp_gt_u64_e64 s1, s[6:7], 7
                                        ; implicit-def: $sgpr16
	s_delay_alu instid0(VALU_DEP_2) | instskip(SKIP_2) | instid1(VALU_DEP_1)
	s_and_b32 s0, s0, exec_lo
	s_cselect_b32 s11, s7, 0
	s_cselect_b32 s10, s6, 56
	s_and_b32 vcc_lo, exec_lo, s1
	s_mov_b32 s0, -1
	s_cbranch_vccz .LBB3_347
; %bb.341:                              ;   in Loop: Header=BB3_340 Depth=1
	s_and_not1_b32 vcc_lo, exec_lo, s0
	s_mov_b64 s[0:1], s[4:5]
	s_cbranch_vccz .LBB3_351
.LBB3_342:                              ;   in Loop: Header=BB3_340 Depth=1
	s_cmp_gt_u32 s16, 7
	s_cbranch_scc1 .LBB3_352
.LBB3_343:                              ;   in Loop: Header=BB3_340 Depth=1
	v_mov_b32_e32 v12, 0
	v_mov_b32_e32 v13, 0
	s_cmp_eq_u32 s16, 0
	s_cbranch_scc1 .LBB3_346
; %bb.344:                              ;   in Loop: Header=BB3_340 Depth=1
	s_mov_b64 s[12:13], 0
	s_mov_b64 s[14:15], 0
.LBB3_345:                              ;   Parent Loop BB3_340 Depth=1
                                        ; =>  This Inner Loop Header: Depth=2
	s_delay_alu instid0(SALU_CYCLE_1)
	s_add_u32 s22, s0, s14
	s_addc_u32 s23, s1, s15
	s_add_u32 s14, s14, 1
	global_load_u8 v4, v5, s[22:23]
	s_addc_u32 s15, s15, 0
	s_waitcnt vmcnt(0)
	v_and_b32_e32 v4, 0xffff, v4
	s_delay_alu instid0(VALU_DEP_1) | instskip(SKIP_3) | instid1(VALU_DEP_1)
	v_lshlrev_b64 v[14:15], s12, v[4:5]
	s_add_u32 s12, s12, 8
	s_addc_u32 s13, s13, 0
	s_cmp_lg_u32 s16, s14
	v_or_b32_e32 v12, v14, v12
	s_delay_alu instid0(VALU_DEP_2)
	v_or_b32_e32 v13, v15, v13
	s_cbranch_scc1 .LBB3_345
.LBB3_346:                              ;   in Loop: Header=BB3_340 Depth=1
	s_mov_b32 s12, 0
	s_mov_b32 s21, 0
	s_branch .LBB3_353
.LBB3_347:                              ;   in Loop: Header=BB3_340 Depth=1
	s_waitcnt vmcnt(0)
	v_mov_b32_e32 v10, 0
	v_mov_b32_e32 v11, 0
	s_cmp_eq_u64 s[6:7], 0
	s_mov_b64 s[0:1], 0
	s_cbranch_scc1 .LBB3_350
; %bb.348:                              ;   in Loop: Header=BB3_340 Depth=1
	v_mov_b32_e32 v10, 0
	v_mov_b32_e32 v11, 0
	s_lshl_b64 s[12:13], s[10:11], 3
	s_mov_b64 s[14:15], s[4:5]
.LBB3_349:                              ;   Parent Loop BB3_340 Depth=1
                                        ; =>  This Inner Loop Header: Depth=2
	global_load_u8 v4, v5, s[14:15]
	s_waitcnt vmcnt(0)
	v_and_b32_e32 v4, 0xffff, v4
	s_delay_alu instid0(VALU_DEP_1)
	v_lshlrev_b64 v[12:13], s0, v[4:5]
	s_add_u32 s0, s0, 8
	s_addc_u32 s1, s1, 0
	s_add_u32 s14, s14, 1
	s_addc_u32 s15, s15, 0
	s_cmp_lg_u32 s12, s0
	v_or_b32_e32 v10, v12, v10
	v_or_b32_e32 v11, v13, v11
	s_cbranch_scc1 .LBB3_349
.LBB3_350:                              ;   in Loop: Header=BB3_340 Depth=1
	s_mov_b32 s16, 0
	s_mov_b64 s[0:1], s[4:5]
	s_cbranch_execnz .LBB3_342
.LBB3_351:                              ;   in Loop: Header=BB3_340 Depth=1
	global_load_b64 v[10:11], v5, s[4:5]
	s_add_i32 s16, s10, -8
	s_add_u32 s0, s4, 8
	s_addc_u32 s1, s5, 0
	s_cmp_gt_u32 s16, 7
	s_cbranch_scc0 .LBB3_343
.LBB3_352:                              ;   in Loop: Header=BB3_340 Depth=1
	s_mov_b32 s12, -1
                                        ; implicit-def: $vgpr12_vgpr13
                                        ; implicit-def: $sgpr21
.LBB3_353:                              ;   in Loop: Header=BB3_340 Depth=1
	s_delay_alu instid0(SALU_CYCLE_1)
	s_and_not1_b32 vcc_lo, exec_lo, s12
	s_cbranch_vccnz .LBB3_355
; %bb.354:                              ;   in Loop: Header=BB3_340 Depth=1
	global_load_b64 v[12:13], v5, s[0:1]
	s_add_i32 s21, s16, -8
	s_add_u32 s0, s0, 8
	s_addc_u32 s1, s1, 0
.LBB3_355:                              ;   in Loop: Header=BB3_340 Depth=1
	s_cmp_gt_u32 s21, 7
	s_cbranch_scc1 .LBB3_360
; %bb.356:                              ;   in Loop: Header=BB3_340 Depth=1
	v_mov_b32_e32 v14, 0
	v_mov_b32_e32 v15, 0
	s_cmp_eq_u32 s21, 0
	s_cbranch_scc1 .LBB3_359
; %bb.357:                              ;   in Loop: Header=BB3_340 Depth=1
	s_mov_b64 s[12:13], 0
	s_mov_b64 s[14:15], 0
.LBB3_358:                              ;   Parent Loop BB3_340 Depth=1
                                        ; =>  This Inner Loop Header: Depth=2
	s_delay_alu instid0(SALU_CYCLE_1)
	s_add_u32 s22, s0, s14
	s_addc_u32 s23, s1, s15
	s_add_u32 s14, s14, 1
	global_load_u8 v4, v5, s[22:23]
	s_addc_u32 s15, s15, 0
	s_waitcnt vmcnt(0)
	v_and_b32_e32 v4, 0xffff, v4
	s_delay_alu instid0(VALU_DEP_1) | instskip(SKIP_3) | instid1(VALU_DEP_1)
	v_lshlrev_b64 v[16:17], s12, v[4:5]
	s_add_u32 s12, s12, 8
	s_addc_u32 s13, s13, 0
	s_cmp_lg_u32 s21, s14
	v_or_b32_e32 v14, v16, v14
	s_delay_alu instid0(VALU_DEP_2)
	v_or_b32_e32 v15, v17, v15
	s_cbranch_scc1 .LBB3_358
.LBB3_359:                              ;   in Loop: Header=BB3_340 Depth=1
	s_mov_b32 s12, 0
	s_mov_b32 s16, 0
	s_branch .LBB3_361
.LBB3_360:                              ;   in Loop: Header=BB3_340 Depth=1
	s_mov_b32 s12, -1
                                        ; implicit-def: $sgpr16
.LBB3_361:                              ;   in Loop: Header=BB3_340 Depth=1
	s_delay_alu instid0(SALU_CYCLE_1)
	s_and_not1_b32 vcc_lo, exec_lo, s12
	s_cbranch_vccnz .LBB3_363
; %bb.362:                              ;   in Loop: Header=BB3_340 Depth=1
	global_load_b64 v[14:15], v5, s[0:1]
	s_add_i32 s16, s21, -8
	s_add_u32 s0, s0, 8
	s_addc_u32 s1, s1, 0
.LBB3_363:                              ;   in Loop: Header=BB3_340 Depth=1
	s_cmp_gt_u32 s16, 7
	s_cbranch_scc1 .LBB3_368
; %bb.364:                              ;   in Loop: Header=BB3_340 Depth=1
	v_mov_b32_e32 v16, 0
	v_mov_b32_e32 v17, 0
	s_cmp_eq_u32 s16, 0
	s_cbranch_scc1 .LBB3_367
; %bb.365:                              ;   in Loop: Header=BB3_340 Depth=1
	s_mov_b64 s[12:13], 0
	s_mov_b64 s[14:15], 0
.LBB3_366:                              ;   Parent Loop BB3_340 Depth=1
                                        ; =>  This Inner Loop Header: Depth=2
	s_delay_alu instid0(SALU_CYCLE_1)
	s_add_u32 s22, s0, s14
	s_addc_u32 s23, s1, s15
	s_add_u32 s14, s14, 1
	global_load_u8 v4, v5, s[22:23]
	s_addc_u32 s15, s15, 0
	s_waitcnt vmcnt(0)
	v_and_b32_e32 v4, 0xffff, v4
	s_delay_alu instid0(VALU_DEP_1) | instskip(SKIP_3) | instid1(VALU_DEP_1)
	v_lshlrev_b64 v[18:19], s12, v[4:5]
	s_add_u32 s12, s12, 8
	s_addc_u32 s13, s13, 0
	s_cmp_lg_u32 s16, s14
	v_or_b32_e32 v16, v18, v16
	s_delay_alu instid0(VALU_DEP_2)
	v_or_b32_e32 v17, v19, v17
	s_cbranch_scc1 .LBB3_366
.LBB3_367:                              ;   in Loop: Header=BB3_340 Depth=1
	s_mov_b32 s12, 0
	s_mov_b32 s21, 0
	s_branch .LBB3_369
.LBB3_368:                              ;   in Loop: Header=BB3_340 Depth=1
	s_mov_b32 s12, -1
                                        ; implicit-def: $vgpr16_vgpr17
                                        ; implicit-def: $sgpr21
.LBB3_369:                              ;   in Loop: Header=BB3_340 Depth=1
	s_delay_alu instid0(SALU_CYCLE_1)
	s_and_not1_b32 vcc_lo, exec_lo, s12
	s_cbranch_vccnz .LBB3_371
; %bb.370:                              ;   in Loop: Header=BB3_340 Depth=1
	global_load_b64 v[16:17], v5, s[0:1]
	s_add_i32 s21, s16, -8
	s_add_u32 s0, s0, 8
	s_addc_u32 s1, s1, 0
.LBB3_371:                              ;   in Loop: Header=BB3_340 Depth=1
	s_cmp_gt_u32 s21, 7
	s_cbranch_scc1 .LBB3_376
; %bb.372:                              ;   in Loop: Header=BB3_340 Depth=1
	v_mov_b32_e32 v18, 0
	v_mov_b32_e32 v19, 0
	s_cmp_eq_u32 s21, 0
	s_cbranch_scc1 .LBB3_375
; %bb.373:                              ;   in Loop: Header=BB3_340 Depth=1
	s_mov_b64 s[12:13], 0
	s_mov_b64 s[14:15], 0
.LBB3_374:                              ;   Parent Loop BB3_340 Depth=1
                                        ; =>  This Inner Loop Header: Depth=2
	s_delay_alu instid0(SALU_CYCLE_1)
	s_add_u32 s22, s0, s14
	s_addc_u32 s23, s1, s15
	s_add_u32 s14, s14, 1
	global_load_u8 v4, v5, s[22:23]
	s_addc_u32 s15, s15, 0
	s_waitcnt vmcnt(0)
	v_and_b32_e32 v4, 0xffff, v4
	s_delay_alu instid0(VALU_DEP_1) | instskip(SKIP_3) | instid1(VALU_DEP_1)
	v_lshlrev_b64 v[20:21], s12, v[4:5]
	s_add_u32 s12, s12, 8
	s_addc_u32 s13, s13, 0
	s_cmp_lg_u32 s21, s14
	v_or_b32_e32 v18, v20, v18
	s_delay_alu instid0(VALU_DEP_2)
	v_or_b32_e32 v19, v21, v19
	s_cbranch_scc1 .LBB3_374
.LBB3_375:                              ;   in Loop: Header=BB3_340 Depth=1
	s_mov_b32 s12, 0
	s_mov_b32 s16, 0
	s_branch .LBB3_377
.LBB3_376:                              ;   in Loop: Header=BB3_340 Depth=1
	s_mov_b32 s12, -1
                                        ; implicit-def: $sgpr16
.LBB3_377:                              ;   in Loop: Header=BB3_340 Depth=1
	s_delay_alu instid0(SALU_CYCLE_1)
	s_and_not1_b32 vcc_lo, exec_lo, s12
	s_cbranch_vccnz .LBB3_379
; %bb.378:                              ;   in Loop: Header=BB3_340 Depth=1
	global_load_b64 v[18:19], v5, s[0:1]
	s_add_i32 s16, s21, -8
	s_add_u32 s0, s0, 8
	s_addc_u32 s1, s1, 0
.LBB3_379:                              ;   in Loop: Header=BB3_340 Depth=1
	s_cmp_gt_u32 s16, 7
	s_cbranch_scc1 .LBB3_384
; %bb.380:                              ;   in Loop: Header=BB3_340 Depth=1
	v_mov_b32_e32 v20, 0
	v_mov_b32_e32 v21, 0
	s_cmp_eq_u32 s16, 0
	s_cbranch_scc1 .LBB3_383
; %bb.381:                              ;   in Loop: Header=BB3_340 Depth=1
	s_mov_b64 s[12:13], 0
	s_mov_b64 s[14:15], 0
.LBB3_382:                              ;   Parent Loop BB3_340 Depth=1
                                        ; =>  This Inner Loop Header: Depth=2
	s_delay_alu instid0(SALU_CYCLE_1)
	s_add_u32 s22, s0, s14
	s_addc_u32 s23, s1, s15
	s_add_u32 s14, s14, 1
	global_load_u8 v4, v5, s[22:23]
	s_addc_u32 s15, s15, 0
	s_waitcnt vmcnt(0)
	v_and_b32_e32 v4, 0xffff, v4
	s_delay_alu instid0(VALU_DEP_1) | instskip(SKIP_3) | instid1(VALU_DEP_1)
	v_lshlrev_b64 v[22:23], s12, v[4:5]
	s_add_u32 s12, s12, 8
	s_addc_u32 s13, s13, 0
	s_cmp_lg_u32 s16, s14
	v_or_b32_e32 v20, v22, v20
	s_delay_alu instid0(VALU_DEP_2)
	v_or_b32_e32 v21, v23, v21
	s_cbranch_scc1 .LBB3_382
.LBB3_383:                              ;   in Loop: Header=BB3_340 Depth=1
	s_mov_b32 s12, 0
	s_mov_b32 s21, 0
	s_branch .LBB3_385
.LBB3_384:                              ;   in Loop: Header=BB3_340 Depth=1
	s_mov_b32 s12, -1
                                        ; implicit-def: $vgpr20_vgpr21
                                        ; implicit-def: $sgpr21
.LBB3_385:                              ;   in Loop: Header=BB3_340 Depth=1
	s_delay_alu instid0(SALU_CYCLE_1)
	s_and_not1_b32 vcc_lo, exec_lo, s12
	s_cbranch_vccnz .LBB3_387
; %bb.386:                              ;   in Loop: Header=BB3_340 Depth=1
	global_load_b64 v[20:21], v5, s[0:1]
	s_add_i32 s21, s16, -8
	s_add_u32 s0, s0, 8
	s_addc_u32 s1, s1, 0
.LBB3_387:                              ;   in Loop: Header=BB3_340 Depth=1
	s_cmp_gt_u32 s21, 7
	s_cbranch_scc1 .LBB3_392
; %bb.388:                              ;   in Loop: Header=BB3_340 Depth=1
	v_mov_b32_e32 v22, 0
	v_mov_b32_e32 v23, 0
	s_cmp_eq_u32 s21, 0
	s_cbranch_scc1 .LBB3_391
; %bb.389:                              ;   in Loop: Header=BB3_340 Depth=1
	s_mov_b64 s[12:13], 0
	s_mov_b64 s[14:15], s[0:1]
.LBB3_390:                              ;   Parent Loop BB3_340 Depth=1
                                        ; =>  This Inner Loop Header: Depth=2
	global_load_u8 v4, v5, s[14:15]
	s_add_i32 s21, s21, -1
	s_waitcnt vmcnt(0)
	v_and_b32_e32 v4, 0xffff, v4
	s_delay_alu instid0(VALU_DEP_1)
	v_lshlrev_b64 v[24:25], s12, v[4:5]
	s_add_u32 s12, s12, 8
	s_addc_u32 s13, s13, 0
	s_add_u32 s14, s14, 1
	s_addc_u32 s15, s15, 0
	s_cmp_lg_u32 s21, 0
	v_or_b32_e32 v22, v24, v22
	v_or_b32_e32 v23, v25, v23
	s_cbranch_scc1 .LBB3_390
.LBB3_391:                              ;   in Loop: Header=BB3_340 Depth=1
	s_mov_b32 s12, 0
	s_branch .LBB3_393
.LBB3_392:                              ;   in Loop: Header=BB3_340 Depth=1
	s_mov_b32 s12, -1
.LBB3_393:                              ;   in Loop: Header=BB3_340 Depth=1
	s_delay_alu instid0(SALU_CYCLE_1)
	s_and_not1_b32 vcc_lo, exec_lo, s12
	s_cbranch_vccnz .LBB3_395
; %bb.394:                              ;   in Loop: Header=BB3_340 Depth=1
	global_load_b64 v[22:23], v5, s[0:1]
.LBB3_395:                              ;   in Loop: Header=BB3_340 Depth=1
	v_readfirstlane_b32 s0, v31
	v_mov_b32_e32 v28, 0
	v_mov_b32_e32 v29, 0
	s_delay_alu instid0(VALU_DEP_3) | instskip(NEXT) | instid1(VALU_DEP_1)
	v_cmp_eq_u32_e64 s0, s0, v31
	s_and_saveexec_b32 s1, s0
	s_cbranch_execz .LBB3_401
; %bb.396:                              ;   in Loop: Header=BB3_340 Depth=1
	global_load_b64 v[26:27], v5, s[2:3] offset:24 glc
	s_waitcnt vmcnt(0)
	buffer_gl1_inv
	buffer_gl0_inv
	s_clause 0x1
	global_load_b64 v[24:25], v5, s[2:3] offset:40
	global_load_b64 v[28:29], v5, s[2:3]
	s_mov_b32 s12, exec_lo
	s_waitcnt vmcnt(1)
	v_and_b32_e32 v4, v25, v27
	v_and_b32_e32 v24, v24, v26
	s_delay_alu instid0(VALU_DEP_2) | instskip(NEXT) | instid1(VALU_DEP_2)
	v_mul_lo_u32 v4, v4, 24
	v_mul_hi_u32 v25, v24, 24
	v_mul_lo_u32 v24, v24, 24
	s_delay_alu instid0(VALU_DEP_2) | instskip(SKIP_1) | instid1(VALU_DEP_2)
	v_add_nc_u32_e32 v4, v25, v4
	s_waitcnt vmcnt(0)
	v_add_co_u32 v24, vcc_lo, v28, v24
	s_delay_alu instid0(VALU_DEP_2)
	v_add_co_ci_u32_e32 v25, vcc_lo, v29, v4, vcc_lo
	global_load_b64 v[24:25], v[24:25], off glc
	s_waitcnt vmcnt(0)
	global_atomic_cmpswap_b64 v[28:29], v5, v[24:27], s[2:3] offset:24 glc
	s_waitcnt vmcnt(0)
	buffer_gl1_inv
	buffer_gl0_inv
	v_cmpx_ne_u64_e64 v[28:29], v[26:27]
	s_cbranch_execz .LBB3_400
; %bb.397:                              ;   in Loop: Header=BB3_340 Depth=1
	s_mov_b32 s13, 0
	.p2align	6
.LBB3_398:                              ;   Parent Loop BB3_340 Depth=1
                                        ; =>  This Inner Loop Header: Depth=2
	s_sleep 1
	s_clause 0x1
	global_load_b64 v[24:25], v5, s[2:3] offset:40
	global_load_b64 v[32:33], v5, s[2:3]
	v_dual_mov_b32 v26, v28 :: v_dual_mov_b32 v27, v29
	s_waitcnt vmcnt(1)
	s_delay_alu instid0(VALU_DEP_1) | instskip(SKIP_1) | instid1(VALU_DEP_1)
	v_and_b32_e32 v4, v24, v26
	s_waitcnt vmcnt(0)
	v_mad_u64_u32 v[28:29], null, v4, 24, v[32:33]
	v_and_b32_e32 v32, v25, v27
	s_delay_alu instid0(VALU_DEP_2) | instskip(NEXT) | instid1(VALU_DEP_1)
	v_mov_b32_e32 v4, v29
	v_mad_u64_u32 v[24:25], null, v32, 24, v[4:5]
	s_delay_alu instid0(VALU_DEP_1)
	v_mov_b32_e32 v29, v24
	global_load_b64 v[24:25], v[28:29], off glc
	s_waitcnt vmcnt(0)
	global_atomic_cmpswap_b64 v[28:29], v5, v[24:27], s[2:3] offset:24 glc
	s_waitcnt vmcnt(0)
	buffer_gl1_inv
	buffer_gl0_inv
	v_cmp_eq_u64_e32 vcc_lo, v[28:29], v[26:27]
	s_or_b32 s13, vcc_lo, s13
	s_delay_alu instid0(SALU_CYCLE_1)
	s_and_not1_b32 exec_lo, exec_lo, s13
	s_cbranch_execnz .LBB3_398
; %bb.399:                              ;   in Loop: Header=BB3_340 Depth=1
	s_or_b32 exec_lo, exec_lo, s13
.LBB3_400:                              ;   in Loop: Header=BB3_340 Depth=1
	s_delay_alu instid0(SALU_CYCLE_1)
	s_or_b32 exec_lo, exec_lo, s12
.LBB3_401:                              ;   in Loop: Header=BB3_340 Depth=1
	s_delay_alu instid0(SALU_CYCLE_1)
	s_or_b32 exec_lo, exec_lo, s1
	s_clause 0x1
	global_load_b64 v[32:33], v5, s[2:3] offset:40
	global_load_b128 v[24:27], v5, s[2:3]
	v_readfirstlane_b32 s12, v28
	v_readfirstlane_b32 s13, v29
	s_mov_b32 s1, exec_lo
	s_waitcnt vmcnt(1)
	v_readfirstlane_b32 s14, v32
	v_readfirstlane_b32 s15, v33
	s_delay_alu instid0(VALU_DEP_1) | instskip(NEXT) | instid1(SALU_CYCLE_1)
	s_and_b64 s[14:15], s[12:13], s[14:15]
	s_mul_i32 s16, s15, 24
	s_mul_hi_u32 s21, s14, 24
	s_mul_i32 s22, s14, 24
	s_add_i32 s21, s21, s16
	s_waitcnt vmcnt(0)
	v_add_co_u32 v28, vcc_lo, v24, s22
	v_add_co_ci_u32_e32 v29, vcc_lo, s21, v25, vcc_lo
	s_and_saveexec_b32 s16, s0
	s_cbranch_execz .LBB3_403
; %bb.402:                              ;   in Loop: Header=BB3_340 Depth=1
	v_mov_b32_e32 v4, s1
	global_store_b128 v[28:29], v[4:7], off offset:8
.LBB3_403:                              ;   in Loop: Header=BB3_340 Depth=1
	s_or_b32 exec_lo, exec_lo, s16
	s_lshl_b64 s[14:15], s[14:15], 12
	v_or_b32_e32 v4, 2, v8
	v_add_co_u32 v26, vcc_lo, v26, s14
	v_add_co_ci_u32_e32 v27, vcc_lo, s15, v27, vcc_lo
	v_cmp_gt_u64_e64 vcc_lo, s[6:7], 56
	s_lshl_b32 s1, s10, 2
	s_delay_alu instid0(VALU_DEP_3) | instskip(SKIP_4) | instid1(VALU_DEP_1)
	v_readfirstlane_b32 s14, v26
	s_add_i32 s1, s1, 28
	v_readfirstlane_b32 s15, v27
	s_and_b32 s1, s1, 0x1e0
	v_cndmask_b32_e32 v4, v4, v8, vcc_lo
	v_and_or_b32 v8, 0xffffff1f, v4, s1
	s_clause 0x3
	global_store_b128 v30, v[8:11], s[14:15]
	global_store_b128 v30, v[12:15], s[14:15] offset:16
	global_store_b128 v30, v[16:19], s[14:15] offset:32
	;; [unrolled: 1-line block ×3, first 2 shown]
	s_and_saveexec_b32 s1, s0
	s_cbranch_execz .LBB3_411
; %bb.404:                              ;   in Loop: Header=BB3_340 Depth=1
	s_clause 0x1
	global_load_b64 v[16:17], v5, s[2:3] offset:32 glc
	global_load_b64 v[8:9], v5, s[2:3] offset:40
	v_dual_mov_b32 v14, s12 :: v_dual_mov_b32 v15, s13
	s_waitcnt vmcnt(0)
	v_readfirstlane_b32 s14, v8
	v_readfirstlane_b32 s15, v9
	s_delay_alu instid0(VALU_DEP_1) | instskip(NEXT) | instid1(SALU_CYCLE_1)
	s_and_b64 s[14:15], s[14:15], s[12:13]
	s_mul_i32 s15, s15, 24
	s_mul_hi_u32 s16, s14, 24
	s_mul_i32 s14, s14, 24
	s_add_i32 s16, s16, s15
	v_add_co_u32 v12, vcc_lo, v24, s14
	v_add_co_ci_u32_e32 v13, vcc_lo, s16, v25, vcc_lo
	s_mov_b32 s14, exec_lo
	global_store_b64 v[12:13], v[16:17], off
	s_waitcnt_vscnt null, 0x0
	global_atomic_cmpswap_b64 v[10:11], v5, v[14:17], s[2:3] offset:32 glc
	s_waitcnt vmcnt(0)
	v_cmpx_ne_u64_e64 v[10:11], v[16:17]
	s_cbranch_execz .LBB3_407
; %bb.405:                              ;   in Loop: Header=BB3_340 Depth=1
	s_mov_b32 s15, 0
.LBB3_406:                              ;   Parent Loop BB3_340 Depth=1
                                        ; =>  This Inner Loop Header: Depth=2
	v_dual_mov_b32 v8, s12 :: v_dual_mov_b32 v9, s13
	s_sleep 1
	global_store_b64 v[12:13], v[10:11], off
	s_waitcnt_vscnt null, 0x0
	global_atomic_cmpswap_b64 v[8:9], v5, v[8:11], s[2:3] offset:32 glc
	s_waitcnt vmcnt(0)
	v_cmp_eq_u64_e32 vcc_lo, v[8:9], v[10:11]
	v_dual_mov_b32 v11, v9 :: v_dual_mov_b32 v10, v8
	s_or_b32 s15, vcc_lo, s15
	s_delay_alu instid0(SALU_CYCLE_1)
	s_and_not1_b32 exec_lo, exec_lo, s15
	s_cbranch_execnz .LBB3_406
.LBB3_407:                              ;   in Loop: Header=BB3_340 Depth=1
	s_or_b32 exec_lo, exec_lo, s14
	global_load_b64 v[8:9], v5, s[2:3] offset:16
	s_mov_b32 s15, exec_lo
	s_mov_b32 s14, exec_lo
	v_mbcnt_lo_u32_b32 v4, s15, 0
	s_delay_alu instid0(VALU_DEP_1)
	v_cmpx_eq_u32_e32 0, v4
	s_cbranch_execz .LBB3_409
; %bb.408:                              ;   in Loop: Header=BB3_340 Depth=1
	s_bcnt1_i32_b32 s15, s15
	s_delay_alu instid0(SALU_CYCLE_1)
	v_mov_b32_e32 v4, s15
	s_waitcnt vmcnt(0)
	global_atomic_add_u64 v[8:9], v[4:5], off offset:8
.LBB3_409:                              ;   in Loop: Header=BB3_340 Depth=1
	s_or_b32 exec_lo, exec_lo, s14
	s_waitcnt vmcnt(0)
	global_load_b64 v[10:11], v[8:9], off offset:16
	s_waitcnt vmcnt(0)
	v_cmp_eq_u64_e32 vcc_lo, 0, v[10:11]
	s_cbranch_vccnz .LBB3_411
; %bb.410:                              ;   in Loop: Header=BB3_340 Depth=1
	global_load_b32 v4, v[8:9], off offset:24
	s_waitcnt vmcnt(0)
	v_and_b32_e32 v8, 0xffffff, v4
	s_waitcnt_vscnt null, 0x0
	global_store_b64 v[10:11], v[4:5], off
	v_readfirstlane_b32 m0, v8
	s_sendmsg sendmsg(MSG_INTERRUPT)
.LBB3_411:                              ;   in Loop: Header=BB3_340 Depth=1
	s_or_b32 exec_lo, exec_lo, s1
	v_add_co_u32 v8, vcc_lo, v26, v30
	v_add_co_ci_u32_e32 v9, vcc_lo, 0, v27, vcc_lo
	s_branch .LBB3_415
	.p2align	6
.LBB3_412:                              ;   in Loop: Header=BB3_415 Depth=2
	s_or_b32 exec_lo, exec_lo, s1
	s_delay_alu instid0(VALU_DEP_1) | instskip(NEXT) | instid1(VALU_DEP_1)
	v_readfirstlane_b32 s1, v4
	s_cmp_eq_u32 s1, 0
	s_cbranch_scc1 .LBB3_414
; %bb.413:                              ;   in Loop: Header=BB3_415 Depth=2
	s_sleep 1
	s_cbranch_execnz .LBB3_415
	s_branch .LBB3_417
	.p2align	6
.LBB3_414:                              ;   in Loop: Header=BB3_340 Depth=1
	s_branch .LBB3_417
.LBB3_415:                              ;   Parent Loop BB3_340 Depth=1
                                        ; =>  This Inner Loop Header: Depth=2
	v_mov_b32_e32 v4, 1
	s_and_saveexec_b32 s1, s0
	s_cbranch_execz .LBB3_412
; %bb.416:                              ;   in Loop: Header=BB3_415 Depth=2
	global_load_b32 v4, v[28:29], off offset:20 glc
	s_waitcnt vmcnt(0)
	buffer_gl1_inv
	buffer_gl0_inv
	v_and_b32_e32 v4, 1, v4
	s_branch .LBB3_412
.LBB3_417:                              ;   in Loop: Header=BB3_340 Depth=1
	global_load_b128 v[8:11], v[8:9], off
	s_and_saveexec_b32 s1, s0
	s_cbranch_execz .LBB3_339
; %bb.418:                              ;   in Loop: Header=BB3_340 Depth=1
	s_clause 0x2
	global_load_b64 v[12:13], v5, s[2:3] offset:40
	global_load_b64 v[16:17], v5, s[2:3] offset:24 glc
	global_load_b64 v[14:15], v5, s[2:3]
	s_waitcnt vmcnt(2)
	v_add_co_u32 v4, vcc_lo, v12, 1
	v_add_co_ci_u32_e32 v18, vcc_lo, 0, v13, vcc_lo
	s_delay_alu instid0(VALU_DEP_2) | instskip(NEXT) | instid1(VALU_DEP_2)
	v_add_co_u32 v10, vcc_lo, v4, s12
	v_add_co_ci_u32_e32 v11, vcc_lo, s13, v18, vcc_lo
	s_delay_alu instid0(VALU_DEP_1) | instskip(SKIP_1) | instid1(VALU_DEP_1)
	v_cmp_eq_u64_e32 vcc_lo, 0, v[10:11]
	v_dual_cndmask_b32 v11, v11, v18 :: v_dual_cndmask_b32 v10, v10, v4
	v_and_b32_e32 v4, v11, v13
	s_delay_alu instid0(VALU_DEP_2) | instskip(NEXT) | instid1(VALU_DEP_2)
	v_and_b32_e32 v12, v10, v12
	v_mul_lo_u32 v4, v4, 24
	s_delay_alu instid0(VALU_DEP_2) | instskip(SKIP_1) | instid1(VALU_DEP_2)
	v_mul_hi_u32 v13, v12, 24
	v_mul_lo_u32 v12, v12, 24
	v_add_nc_u32_e32 v4, v13, v4
	s_waitcnt vmcnt(1)
	v_mov_b32_e32 v13, v17
	s_waitcnt vmcnt(0)
	s_delay_alu instid0(VALU_DEP_3)
	v_add_co_u32 v14, vcc_lo, v14, v12
	v_mov_b32_e32 v12, v16
	v_add_co_ci_u32_e32 v15, vcc_lo, v15, v4, vcc_lo
	global_store_b64 v[14:15], v[16:17], off
	s_waitcnt_vscnt null, 0x0
	global_atomic_cmpswap_b64 v[12:13], v5, v[10:13], s[2:3] offset:24 glc
	s_waitcnt vmcnt(0)
	v_cmp_ne_u64_e32 vcc_lo, v[12:13], v[16:17]
	s_and_b32 exec_lo, exec_lo, vcc_lo
	s_cbranch_execz .LBB3_339
; %bb.419:                              ;   in Loop: Header=BB3_340 Depth=1
	s_mov_b32 s0, 0
.LBB3_420:                              ;   Parent Loop BB3_340 Depth=1
                                        ; =>  This Inner Loop Header: Depth=2
	s_sleep 1
	global_store_b64 v[14:15], v[12:13], off
	s_waitcnt_vscnt null, 0x0
	global_atomic_cmpswap_b64 v[16:17], v5, v[10:13], s[2:3] offset:24 glc
	s_waitcnt vmcnt(0)
	v_cmp_eq_u64_e32 vcc_lo, v[16:17], v[12:13]
	v_dual_mov_b32 v12, v16 :: v_dual_mov_b32 v13, v17
	s_or_b32 s0, vcc_lo, s0
	s_delay_alu instid0(SALU_CYCLE_1)
	s_and_not1_b32 exec_lo, exec_lo, s0
	s_cbranch_execnz .LBB3_420
	s_branch .LBB3_339
.LBB3_421:
	s_mov_b32 s0, 0
	s_branch .LBB3_423
.LBB3_422:
	s_mov_b32 s0, -1
.LBB3_423:
	v_mov_b32_e32 v53, v1
	v_mov_b32_e32 v55, v0
	s_and_b32 vcc_lo, exec_lo, s0
	s_cbranch_vccz .LBB3_451
; %bb.424:
	v_readfirstlane_b32 s0, v31
	v_mov_b32_e32 v0, 0
	v_mov_b32_e32 v1, 0
	s_delay_alu instid0(VALU_DEP_3) | instskip(NEXT) | instid1(VALU_DEP_1)
	v_cmp_eq_u32_e64 s0, s0, v31
	s_and_saveexec_b32 s1, s0
	s_cbranch_execz .LBB3_430
; %bb.425:
	v_mov_b32_e32 v4, 0
	s_mov_b32 s4, exec_lo
	global_load_b64 v[7:8], v4, s[2:3] offset:24 glc
	s_waitcnt vmcnt(0)
	buffer_gl1_inv
	buffer_gl0_inv
	s_clause 0x1
	global_load_b64 v[0:1], v4, s[2:3] offset:40
	global_load_b64 v[5:6], v4, s[2:3]
	s_waitcnt vmcnt(1)
	v_and_b32_e32 v1, v1, v8
	v_and_b32_e32 v0, v0, v7
	s_delay_alu instid0(VALU_DEP_2) | instskip(NEXT) | instid1(VALU_DEP_2)
	v_mul_lo_u32 v1, v1, 24
	v_mul_hi_u32 v9, v0, 24
	v_mul_lo_u32 v0, v0, 24
	s_delay_alu instid0(VALU_DEP_2) | instskip(SKIP_1) | instid1(VALU_DEP_2)
	v_add_nc_u32_e32 v1, v9, v1
	s_waitcnt vmcnt(0)
	v_add_co_u32 v0, vcc_lo, v5, v0
	s_delay_alu instid0(VALU_DEP_2)
	v_add_co_ci_u32_e32 v1, vcc_lo, v6, v1, vcc_lo
	global_load_b64 v[5:6], v[0:1], off glc
	s_waitcnt vmcnt(0)
	global_atomic_cmpswap_b64 v[0:1], v4, v[5:8], s[2:3] offset:24 glc
	s_waitcnt vmcnt(0)
	buffer_gl1_inv
	buffer_gl0_inv
	v_cmpx_ne_u64_e64 v[0:1], v[7:8]
	s_cbranch_execz .LBB3_429
; %bb.426:
	s_mov_b32 s5, 0
.LBB3_427:                              ; =>This Inner Loop Header: Depth=1
	s_sleep 1
	s_clause 0x1
	global_load_b64 v[5:6], v4, s[2:3] offset:40
	global_load_b64 v[9:10], v4, s[2:3]
	v_dual_mov_b32 v8, v1 :: v_dual_mov_b32 v7, v0
	s_waitcnt vmcnt(1)
	s_delay_alu instid0(VALU_DEP_1) | instskip(SKIP_1) | instid1(VALU_DEP_1)
	v_and_b32_e32 v5, v5, v7
	s_waitcnt vmcnt(0)
	v_mad_u64_u32 v[0:1], null, v5, 24, v[9:10]
	v_and_b32_e32 v9, v6, v8
	s_delay_alu instid0(VALU_DEP_1) | instskip(NEXT) | instid1(VALU_DEP_1)
	v_mad_u64_u32 v[5:6], null, v9, 24, v[1:2]
	v_mov_b32_e32 v1, v5
	global_load_b64 v[5:6], v[0:1], off glc
	s_waitcnt vmcnt(0)
	global_atomic_cmpswap_b64 v[0:1], v4, v[5:8], s[2:3] offset:24 glc
	s_waitcnt vmcnt(0)
	buffer_gl1_inv
	buffer_gl0_inv
	v_cmp_eq_u64_e32 vcc_lo, v[0:1], v[7:8]
	s_or_b32 s5, vcc_lo, s5
	s_delay_alu instid0(SALU_CYCLE_1)
	s_and_not1_b32 exec_lo, exec_lo, s5
	s_cbranch_execnz .LBB3_427
; %bb.428:
	s_or_b32 exec_lo, exec_lo, s5
.LBB3_429:
	s_delay_alu instid0(SALU_CYCLE_1)
	s_or_b32 exec_lo, exec_lo, s4
.LBB3_430:
	s_delay_alu instid0(SALU_CYCLE_1)
	s_or_b32 exec_lo, exec_lo, s1
	v_mov_b32_e32 v4, 0
	v_readfirstlane_b32 s4, v0
	v_readfirstlane_b32 s5, v1
	s_mov_b32 s1, exec_lo
	s_clause 0x1
	global_load_b64 v[10:11], v4, s[2:3] offset:40
	global_load_b128 v[6:9], v4, s[2:3]
	s_waitcnt vmcnt(1)
	v_readfirstlane_b32 s6, v10
	v_readfirstlane_b32 s7, v11
	s_delay_alu instid0(VALU_DEP_1) | instskip(NEXT) | instid1(SALU_CYCLE_1)
	s_and_b64 s[6:7], s[4:5], s[6:7]
	s_mul_i32 s10, s7, 24
	s_mul_hi_u32 s11, s6, 24
	s_mul_i32 s12, s6, 24
	s_add_i32 s11, s11, s10
	s_waitcnt vmcnt(0)
	v_add_co_u32 v10, vcc_lo, v6, s12
	v_add_co_ci_u32_e32 v11, vcc_lo, s11, v7, vcc_lo
	s_and_saveexec_b32 s10, s0
	s_cbranch_execz .LBB3_432
; %bb.431:
	v_dual_mov_b32 v12, s1 :: v_dual_mov_b32 v13, v4
	v_dual_mov_b32 v14, 2 :: v_dual_mov_b32 v15, 1
	global_store_b128 v[10:11], v[12:15], off offset:8
.LBB3_432:
	s_or_b32 exec_lo, exec_lo, s10
	s_lshl_b64 s[6:7], s[6:7], 12
	s_mov_b32 s12, 0
	v_add_co_u32 v0, vcc_lo, v8, s6
	v_add_co_ci_u32_e32 v1, vcc_lo, s7, v9, vcc_lo
	s_mov_b32 s13, s12
	s_mov_b32 s14, s12
	s_mov_b32 s15, s12
	v_and_or_b32 v2, 0xffffff1d, v2, 34
	v_dual_mov_b32 v5, v4 :: v_dual_mov_b32 v12, s12
	v_readfirstlane_b32 s6, v0
	v_readfirstlane_b32 s7, v1
	v_dual_mov_b32 v13, s13 :: v_dual_mov_b32 v14, s14
	v_mov_b32_e32 v15, s15
	s_clause 0x3
	global_store_b128 v30, v[2:5], s[6:7]
	global_store_b128 v30, v[12:15], s[6:7] offset:16
	global_store_b128 v30, v[12:15], s[6:7] offset:32
	;; [unrolled: 1-line block ×3, first 2 shown]
	s_and_saveexec_b32 s1, s0
	s_cbranch_execz .LBB3_440
; %bb.433:
	v_dual_mov_b32 v8, 0 :: v_dual_mov_b32 v13, s5
	v_mov_b32_e32 v12, s4
	s_clause 0x1
	global_load_b64 v[14:15], v8, s[2:3] offset:32 glc
	global_load_b64 v[0:1], v8, s[2:3] offset:40
	s_waitcnt vmcnt(0)
	v_readfirstlane_b32 s6, v0
	v_readfirstlane_b32 s7, v1
	s_delay_alu instid0(VALU_DEP_1) | instskip(NEXT) | instid1(SALU_CYCLE_1)
	s_and_b64 s[6:7], s[6:7], s[4:5]
	s_mul_i32 s7, s7, 24
	s_mul_hi_u32 s10, s6, 24
	s_mul_i32 s6, s6, 24
	s_add_i32 s10, s10, s7
	v_add_co_u32 v4, vcc_lo, v6, s6
	v_add_co_ci_u32_e32 v5, vcc_lo, s10, v7, vcc_lo
	s_mov_b32 s6, exec_lo
	global_store_b64 v[4:5], v[14:15], off
	s_waitcnt_vscnt null, 0x0
	global_atomic_cmpswap_b64 v[2:3], v8, v[12:15], s[2:3] offset:32 glc
	s_waitcnt vmcnt(0)
	v_cmpx_ne_u64_e64 v[2:3], v[14:15]
	s_cbranch_execz .LBB3_436
; %bb.434:
	s_mov_b32 s7, 0
.LBB3_435:                              ; =>This Inner Loop Header: Depth=1
	v_dual_mov_b32 v0, s4 :: v_dual_mov_b32 v1, s5
	s_sleep 1
	global_store_b64 v[4:5], v[2:3], off
	s_waitcnt_vscnt null, 0x0
	global_atomic_cmpswap_b64 v[0:1], v8, v[0:3], s[2:3] offset:32 glc
	s_waitcnt vmcnt(0)
	v_cmp_eq_u64_e32 vcc_lo, v[0:1], v[2:3]
	v_dual_mov_b32 v3, v1 :: v_dual_mov_b32 v2, v0
	s_or_b32 s7, vcc_lo, s7
	s_delay_alu instid0(SALU_CYCLE_1)
	s_and_not1_b32 exec_lo, exec_lo, s7
	s_cbranch_execnz .LBB3_435
.LBB3_436:
	s_or_b32 exec_lo, exec_lo, s6
	v_mov_b32_e32 v3, 0
	s_mov_b32 s7, exec_lo
	s_mov_b32 s6, exec_lo
	v_mbcnt_lo_u32_b32 v2, s7, 0
	global_load_b64 v[0:1], v3, s[2:3] offset:16
	v_cmpx_eq_u32_e32 0, v2
	s_cbranch_execz .LBB3_438
; %bb.437:
	s_bcnt1_i32_b32 s7, s7
	s_delay_alu instid0(SALU_CYCLE_1)
	v_mov_b32_e32 v2, s7
	s_waitcnt vmcnt(0)
	global_atomic_add_u64 v[0:1], v[2:3], off offset:8
.LBB3_438:
	s_or_b32 exec_lo, exec_lo, s6
	s_waitcnt vmcnt(0)
	global_load_b64 v[2:3], v[0:1], off offset:16
	s_waitcnt vmcnt(0)
	v_cmp_eq_u64_e32 vcc_lo, 0, v[2:3]
	s_cbranch_vccnz .LBB3_440
; %bb.439:
	global_load_b32 v0, v[0:1], off offset:24
	s_waitcnt vmcnt(0)
	v_dual_mov_b32 v1, 0 :: v_dual_and_b32 v4, 0xffffff, v0
	s_waitcnt_vscnt null, 0x0
	global_store_b64 v[2:3], v[0:1], off
	v_readfirstlane_b32 m0, v4
	s_sendmsg sendmsg(MSG_INTERRUPT)
.LBB3_440:
	s_or_b32 exec_lo, exec_lo, s1
	s_branch .LBB3_444
.LBB3_441:                              ;   in Loop: Header=BB3_444 Depth=1
	s_or_b32 exec_lo, exec_lo, s1
	s_delay_alu instid0(VALU_DEP_1) | instskip(NEXT) | instid1(VALU_DEP_1)
	v_readfirstlane_b32 s1, v0
	s_cmp_eq_u32 s1, 0
	s_cbranch_scc1 .LBB3_443
; %bb.442:                              ;   in Loop: Header=BB3_444 Depth=1
	s_sleep 1
	s_cbranch_execnz .LBB3_444
	s_branch .LBB3_446
.LBB3_443:
	s_branch .LBB3_446
.LBB3_444:                              ; =>This Inner Loop Header: Depth=1
	v_mov_b32_e32 v0, 1
	s_and_saveexec_b32 s1, s0
	s_cbranch_execz .LBB3_441
; %bb.445:                              ;   in Loop: Header=BB3_444 Depth=1
	global_load_b32 v0, v[10:11], off offset:20 glc
	s_waitcnt vmcnt(0)
	buffer_gl1_inv
	buffer_gl0_inv
	v_and_b32_e32 v0, 1, v0
	s_branch .LBB3_441
.LBB3_446:
	s_and_saveexec_b32 s1, s0
	s_cbranch_execz .LBB3_450
; %bb.447:
	v_mov_b32_e32 v6, 0
	s_clause 0x2
	global_load_b64 v[2:3], v6, s[2:3] offset:40
	global_load_b64 v[7:8], v6, s[2:3] offset:24 glc
	global_load_b64 v[4:5], v6, s[2:3]
	s_waitcnt vmcnt(2)
	v_add_co_u32 v9, vcc_lo, v2, 1
	v_add_co_ci_u32_e32 v10, vcc_lo, 0, v3, vcc_lo
	s_delay_alu instid0(VALU_DEP_2) | instskip(NEXT) | instid1(VALU_DEP_2)
	v_add_co_u32 v0, vcc_lo, v9, s4
	v_add_co_ci_u32_e32 v1, vcc_lo, s5, v10, vcc_lo
	s_delay_alu instid0(VALU_DEP_1) | instskip(SKIP_1) | instid1(VALU_DEP_1)
	v_cmp_eq_u64_e32 vcc_lo, 0, v[0:1]
	v_dual_cndmask_b32 v1, v1, v10 :: v_dual_cndmask_b32 v0, v0, v9
	v_and_b32_e32 v3, v1, v3
	s_delay_alu instid0(VALU_DEP_2) | instskip(NEXT) | instid1(VALU_DEP_2)
	v_and_b32_e32 v2, v0, v2
	v_mul_lo_u32 v3, v3, 24
	s_delay_alu instid0(VALU_DEP_2) | instskip(SKIP_1) | instid1(VALU_DEP_2)
	v_mul_hi_u32 v9, v2, 24
	v_mul_lo_u32 v2, v2, 24
	v_add_nc_u32_e32 v3, v9, v3
	s_waitcnt vmcnt(0)
	s_delay_alu instid0(VALU_DEP_2) | instskip(SKIP_1) | instid1(VALU_DEP_3)
	v_add_co_u32 v4, vcc_lo, v4, v2
	v_mov_b32_e32 v2, v7
	v_add_co_ci_u32_e32 v5, vcc_lo, v5, v3, vcc_lo
	v_mov_b32_e32 v3, v8
	global_store_b64 v[4:5], v[7:8], off
	s_waitcnt_vscnt null, 0x0
	global_atomic_cmpswap_b64 v[2:3], v6, v[0:3], s[2:3] offset:24 glc
	s_waitcnt vmcnt(0)
	v_cmp_ne_u64_e32 vcc_lo, v[2:3], v[7:8]
	s_and_b32 exec_lo, exec_lo, vcc_lo
	s_cbranch_execz .LBB3_450
; %bb.448:
	s_mov_b32 s0, 0
.LBB3_449:                              ; =>This Inner Loop Header: Depth=1
	s_sleep 1
	global_store_b64 v[4:5], v[2:3], off
	s_waitcnt_vscnt null, 0x0
	global_atomic_cmpswap_b64 v[7:8], v6, v[0:3], s[2:3] offset:24 glc
	s_waitcnt vmcnt(0)
	v_cmp_eq_u64_e32 vcc_lo, v[7:8], v[2:3]
	v_dual_mov_b32 v2, v7 :: v_dual_mov_b32 v3, v8
	s_or_b32 s0, vcc_lo, s0
	s_delay_alu instid0(SALU_CYCLE_1)
	s_and_not1_b32 exec_lo, exec_lo, s0
	s_cbranch_execnz .LBB3_449
.LBB3_450:
	s_or_b32 exec_lo, exec_lo, s1
.LBB3_451:
	s_getpc_b64 s[0:1]
	s_add_u32 s0, s0, .str.29@rel32@lo+4
	s_addc_u32 s1, s1, .str.29@rel32@hi+12
	s_getpc_b64 s[2:3]
	s_add_u32 s2, s2, .str.19@rel32@lo+4
	s_addc_u32 s3, s3, .str.19@rel32@hi+12
	s_getpc_b64 s[4:5]
	s_add_u32 s4, s4, __PRETTY_FUNCTION__._ZN7VecsMemIjLi8192EE5fetchEi@rel32@lo+4
	s_addc_u32 s5, s5, __PRETTY_FUNCTION__._ZN7VecsMemIjLi8192EE5fetchEi@rel32@hi+12
	v_dual_mov_b32 v0, s0 :: v_dual_mov_b32 v1, s1
	s_waitcnt vmcnt(0)
	v_dual_mov_b32 v2, s2 :: v_dual_mov_b32 v3, s3
	v_dual_mov_b32 v4, 12 :: v_dual_mov_b32 v5, s4
	v_mov_b32_e32 v6, s5
	s_getpc_b64 s[6:7]
	s_add_u32 s6, s6, __assert_fail@rel32@lo+4
	s_addc_u32 s7, s7, __assert_fail@rel32@hi+12
	s_delay_alu instid0(SALU_CYCLE_1)
	s_swappc_b64 s[30:31], s[6:7]
	v_dual_mov_b32 v0, v55 :: v_dual_mov_b32 v1, v53
	s_or_b32 s0, s54, exec_lo
.LBB3_452:
	s_or_b32 exec_lo, exec_lo, s20
	s_delay_alu instid0(SALU_CYCLE_1) | instskip(SKIP_1) | instid1(SALU_CYCLE_1)
	s_and_not1_b32 s1, s54, exec_lo
	s_and_b32 s0, s0, exec_lo
	s_or_b32 s20, s1, s0
	s_or_not1_b32 s0, s19, exec_lo
.LBB3_453:
	s_or_b32 exec_lo, exec_lo, s18
	s_and_saveexec_b32 s18, s0
	s_mov_b64 s[8:9], s[34:35]
	s_cbranch_execz .LBB3_486
; %bb.454:
	s_mov_b32 s19, 0
	s_mov_b32 s21, s20
	flat_store_b64 v[45:46], v[66:67] offset:8
	s_mov_b32 s0, exec_lo
	v_cmpx_ne_u64_e32 0, v[66:67]
	s_xor_b32 s17, exec_lo, s0
	s_cbranch_execz .LBB3_483
; %bb.455:
	v_mov_b32_e32 v2, 0
	v_lshlrev_b32_e32 v6, 1, v47
	s_mov_b32 s2, 0
	s_mov_b32 s1, exec_lo
	v_cmpx_lt_i32_e32 0, v68
	s_cbranch_execz .LBB3_459
; %bb.456:
	scratch_load_b64 v[2:3], off, s33 offset:104
	v_lshlrev_b32_e64 v7, v6, 1
	v_dual_mov_b32 v4, v66 :: v_dual_mov_b32 v5, v67
	v_mov_b32_e32 v8, v68
.LBB3_457:                              ; =>This Inner Loop Header: Depth=1
	s_waitcnt vmcnt(0)
	flat_load_b32 v9, v[2:3]
	v_add_nc_u32_e32 v8, -1, v8
	v_add_co_u32 v2, vcc_lo, v2, 4
	v_add_co_ci_u32_e32 v3, vcc_lo, 0, v3, vcc_lo
	s_delay_alu instid0(VALU_DEP_3)
	v_cmp_eq_u32_e32 vcc_lo, 0, v8
	s_or_b32 s2, vcc_lo, s2
	s_waitcnt vmcnt(0) lgkmcnt(0)
	v_or_b32_e32 v9, v9, v7
	flat_store_b32 v[4:5], v9
	v_add_co_u32 v4, s0, v4, 4
	s_delay_alu instid0(VALU_DEP_1)
	v_add_co_ci_u32_e64 v5, s0, 0, v5, s0
	s_and_not1_b32 exec_lo, exec_lo, s2
	s_cbranch_execnz .LBB3_457
; %bb.458:
	s_or_b32 exec_lo, exec_lo, s2
	v_mov_b32_e32 v2, v68
.LBB3_459:
	s_or_b32 exec_lo, exec_lo, s1
	s_mov_b32 s2, 0
	s_mov_b32 s1, exec_lo
	v_cmpx_lt_i32_e32 0, v65
	s_cbranch_execz .LBB3_463
; %bb.460:
	scratch_load_b64 v[4:5], off, s33 offset:120
	v_mov_b32_e32 v3, 0
	s_delay_alu instid0(VALU_DEP_1) | instskip(SKIP_2) | instid1(VALU_DEP_3)
	v_lshlrev_b64 v[7:8], 2, v[2:3]
	v_add_nc_u32_e32 v2, v65, v2
	v_lshlrev_b32_e64 v3, v6, 2
	v_add_co_u32 v6, vcc_lo, v66, v7
	s_delay_alu instid0(VALU_DEP_4)
	v_add_co_ci_u32_e32 v7, vcc_lo, v67, v8, vcc_lo
.LBB3_461:                              ; =>This Inner Loop Header: Depth=1
	s_waitcnt vmcnt(0)
	flat_load_b32 v8, v[4:5]
	v_add_nc_u32_e32 v65, -1, v65
	v_add_co_u32 v4, vcc_lo, v4, 4
	v_add_co_ci_u32_e32 v5, vcc_lo, 0, v5, vcc_lo
	s_delay_alu instid0(VALU_DEP_3)
	v_cmp_eq_u32_e32 vcc_lo, 0, v65
	s_or_b32 s2, vcc_lo, s2
	s_waitcnt vmcnt(0) lgkmcnt(0)
	v_or_b32_e32 v8, v8, v3
	flat_store_b32 v[6:7], v8
	v_add_co_u32 v6, s0, v6, 4
	s_delay_alu instid0(VALU_DEP_1)
	v_add_co_ci_u32_e64 v7, s0, 0, v7, s0
	s_and_not1_b32 exec_lo, exec_lo, s2
	s_cbranch_execnz .LBB3_461
; %bb.462:
	s_or_b32 exec_lo, exec_lo, s2
.LBB3_463:
	s_delay_alu instid0(SALU_CYCLE_1)
	s_or_b32 exec_lo, exec_lo, s1
	s_mov_b32 s2, 0
	s_mov_b32 s1, exec_lo
	v_cmpx_lt_i32_e32 0, v54
	s_cbranch_execz .LBB3_467
; %bb.464:
	scratch_load_b64 v[4:5], off, s33 offset:136
	v_mov_b32_e32 v3, 0
	s_delay_alu instid0(VALU_DEP_1) | instskip(SKIP_1) | instid1(VALU_DEP_2)
	v_lshlrev_b64 v[6:7], 2, v[2:3]
	v_add_nc_u32_e32 v2, v2, v54
	v_add_co_u32 v6, vcc_lo, v66, v6
	s_delay_alu instid0(VALU_DEP_3)
	v_add_co_ci_u32_e32 v7, vcc_lo, v67, v7, vcc_lo
.LBB3_465:                              ; =>This Inner Loop Header: Depth=1
	s_waitcnt vmcnt(0)
	flat_load_b32 v3, v[4:5]
	v_add_nc_u32_e32 v54, -1, v54
	v_add_co_u32 v4, vcc_lo, v4, 4
	v_add_co_ci_u32_e32 v5, vcc_lo, 0, v5, vcc_lo
	s_delay_alu instid0(VALU_DEP_3) | instskip(SKIP_4) | instid1(VALU_DEP_1)
	v_cmp_eq_u32_e32 vcc_lo, 0, v54
	s_or_b32 s2, vcc_lo, s2
	s_waitcnt vmcnt(0) lgkmcnt(0)
	flat_store_b32 v[6:7], v3
	v_add_co_u32 v6, s0, v6, 4
	v_add_co_ci_u32_e64 v7, s0, 0, v7, s0
	s_and_not1_b32 exec_lo, exec_lo, s2
	s_cbranch_execnz .LBB3_465
; %bb.466:
	s_or_b32 exec_lo, exec_lo, s2
.LBB3_467:
	s_delay_alu instid0(SALU_CYCLE_1)
	s_or_b32 exec_lo, exec_lo, s1
	flat_load_b32 v3, v[45:46] offset:4
	s_mov_b32 s2, s20
	s_mov_b32 s0, exec_lo
	s_waitcnt vmcnt(0) lgkmcnt(0)
	v_cmpx_ne_u32_e64 v2, v3
	s_xor_b32 s19, exec_lo, s0
	s_cbranch_execz .LBB3_469
; %bb.468:
	s_getpc_b64 s[0:1]
	s_add_u32 s0, s0, .str.23@rel32@lo+4
	s_addc_u32 s1, s1, .str.23@rel32@hi+12
	s_getpc_b64 s[2:3]
	s_add_u32 s2, s2, .str.16@rel32@lo+4
	s_addc_u32 s3, s3, .str.16@rel32@hi+12
	s_getpc_b64 s[4:5]
	s_add_u32 s4, s4, __PRETTY_FUNCTION__._ZN3sop13minatoIsopRecEPKjS1_iPNS_3SopEP7VecsMemIjLi8192EE@rel32@lo+4
	s_addc_u32 s5, s5, __PRETTY_FUNCTION__._ZN3sop13minatoIsopRecEPKjS1_iPNS_3SopEP7VecsMemIjLi8192EE@rel32@hi+12
	v_dual_mov_b32 v0, s0 :: v_dual_mov_b32 v1, s1
	v_dual_mov_b32 v2, s2 :: v_dual_mov_b32 v3, s3
	;; [unrolled: 1-line block ×3, first 2 shown]
	v_mov_b32_e32 v6, s5
	s_mov_b64 s[8:9], s[34:35]
	s_getpc_b64 s[6:7]
	s_add_u32 s6, s6, __assert_fail@rel32@lo+4
	s_addc_u32 s7, s7, __assert_fail@rel32@hi+12
	s_delay_alu instid0(SALU_CYCLE_1)
	s_swappc_b64 s[30:31], s[6:7]
	s_mov_b64 s[8:9], s[34:35]
	s_or_b32 s2, s20, exec_lo
                                        ; implicit-def: $vgpr78
                                        ; implicit-def: $vgpr76_vgpr77
                                        ; implicit-def: $vgpr60
                                        ; implicit-def: $vgpr61
                                        ; implicit-def: $vgpr62
                                        ; implicit-def: $vgpr63
                                        ; implicit-def: $vgpr0
                                        ; implicit-def: $vgpr1
                                        ; implicit-def: $vgpr74_vgpr75
.LBB3_469:
	s_or_saveexec_b32 s3, s19
	s_mov_b32 s0, 0
	s_xor_b32 exec_lo, exec_lo, s3
	s_cbranch_execz .LBB3_482
; %bb.470:
	s_and_saveexec_b32 s1, s36
	s_cbranch_execz .LBB3_475
; %bb.471:
	v_dual_mov_b32 v3, 0 :: v_dual_add_nc_u32 v2, -1, v76
	s_mov_b32 s4, 0
	s_delay_alu instid0(VALU_DEP_1) | instskip(NEXT) | instid1(VALU_DEP_1)
	v_lshlrev_b64 v[2:3], 2, v[2:3]
	v_add_co_u32 v4, vcc_lo, v41, v2
	s_delay_alu instid0(VALU_DEP_2) | instskip(SKIP_4) | instid1(VALU_DEP_3)
	v_add_co_ci_u32_e32 v5, vcc_lo, v42, v3, vcc_lo
	v_add_co_u32 v0, vcc_lo, v0, v2
	v_add_co_ci_u32_e32 v1, vcc_lo, v1, v3, vcc_lo
	v_add_nc_u32_e32 v10, 1, v76
	v_add_co_u32 v6, vcc_lo, v60, v2
	v_mov_b32_e32 v9, v1
	v_add_co_ci_u32_e32 v7, vcc_lo, v61, v3, vcc_lo
	s_delay_alu instid0(VALU_DEP_4)
	v_dual_mov_b32 v8, v0 :: v_dual_mov_b32 v11, v10
.LBB3_472:                              ; =>This Inner Loop Header: Depth=1
	flat_load_b32 v12, v[6:7]
	flat_load_b32 v13, v[8:9]
	v_add_co_u32 v8, vcc_lo, v8, -4
	v_add_nc_u32_e32 v11, -1, v11
	v_add_co_ci_u32_e32 v9, vcc_lo, -1, v9, vcc_lo
	v_add_co_u32 v6, vcc_lo, v6, -4
	v_add_co_ci_u32_e32 v7, vcc_lo, -1, v7, vcc_lo
	s_delay_alu instid0(VALU_DEP_4)
	v_cmp_gt_u32_e32 vcc_lo, 2, v11
	s_or_b32 s4, vcc_lo, s4
	s_waitcnt vmcnt(0) lgkmcnt(0)
	v_or_b32_e32 v12, v13, v12
	flat_store_b32 v[4:5], v12
	v_add_co_u32 v4, s0, v4, -4
	s_delay_alu instid0(VALU_DEP_1)
	v_add_co_ci_u32_e64 v5, s0, -1, v5, s0
	s_and_not1_b32 exec_lo, exec_lo, s4
	s_cbranch_execnz .LBB3_472
; %bb.473:
	s_or_b32 exec_lo, exec_lo, s4
	v_add_co_u32 v4, vcc_lo, v74, v2
	v_add_co_ci_u32_e32 v5, vcc_lo, v75, v3, vcc_lo
	s_mov_b32 s4, 0
	s_delay_alu instid0(VALU_DEP_2) | instskip(NEXT) | instid1(VALU_DEP_2)
	v_add_co_u32 v4, vcc_lo, v41, v4
	v_add_co_ci_u32_e32 v5, vcc_lo, v42, v5, vcc_lo
	v_add_co_u32 v2, vcc_lo, v62, v2
	v_add_co_ci_u32_e32 v3, vcc_lo, v63, v3, vcc_lo
.LBB3_474:                              ; =>This Inner Loop Header: Depth=1
	flat_load_b32 v6, v[2:3]
	flat_load_b32 v7, v[0:1]
	v_add_co_u32 v0, vcc_lo, v0, -4
	v_add_nc_u32_e32 v10, -1, v10
	v_add_co_ci_u32_e32 v1, vcc_lo, -1, v1, vcc_lo
	v_add_co_u32 v2, vcc_lo, v2, -4
	v_add_co_ci_u32_e32 v3, vcc_lo, -1, v3, vcc_lo
	s_delay_alu instid0(VALU_DEP_4)
	v_cmp_gt_u32_e32 vcc_lo, 2, v10
	s_or_b32 s4, vcc_lo, s4
	s_waitcnt vmcnt(0) lgkmcnt(0)
	v_or_b32_e32 v6, v7, v6
	flat_store_b32 v[4:5], v6
	v_add_co_u32 v4, s0, v4, -4
	s_delay_alu instid0(VALU_DEP_1)
	v_add_co_ci_u32_e64 v5, s0, -1, v5, s0
	s_and_not1_b32 exec_lo, exec_lo, s4
	s_cbranch_execnz .LBB3_474
.LBB3_475:
	s_or_b32 exec_lo, exec_lo, s1
	v_lshlrev_b32_e64 v6, v78, 2
	v_ashrrev_i32_e32 v4, 31, v73
	s_mov_b32 s4, 0
	s_mov_b32 s6, 1
	s_mov_b32 s5, exec_lo
	v_ashrrev_i32_e32 v0, 31, v6
	v_add_nc_u32_e32 v5, v73, v4
	s_delay_alu instid0(VALU_DEP_2) | instskip(NEXT) | instid1(VALU_DEP_2)
	v_add_nc_u32_e32 v1, v6, v0
	v_xor_b32_e32 v5, v5, v4
	s_delay_alu instid0(VALU_DEP_2) | instskip(SKIP_1) | instid1(VALU_DEP_2)
	v_xor_b32_e32 v1, v1, v0
	v_xor_b32_e32 v0, v4, v0
	v_cvt_f32_u32_e32 v2, v1
	v_sub_nc_u32_e32 v3, 0, v1
	s_delay_alu instid0(VALU_DEP_2) | instskip(SKIP_2) | instid1(VALU_DEP_1)
	v_rcp_iflag_f32_e32 v2, v2
	s_waitcnt_depctr 0xfff
	v_mul_f32_e32 v2, 0x4f7ffffe, v2
	v_cvt_u32_f32_e32 v2, v2
	s_delay_alu instid0(VALU_DEP_1) | instskip(NEXT) | instid1(VALU_DEP_1)
	v_mul_lo_u32 v3, v3, v2
	v_mul_hi_u32 v3, v2, v3
	s_delay_alu instid0(VALU_DEP_1) | instskip(NEXT) | instid1(VALU_DEP_1)
	v_add_nc_u32_e32 v2, v2, v3
	v_mul_hi_u32 v2, v5, v2
	s_delay_alu instid0(VALU_DEP_1) | instskip(NEXT) | instid1(VALU_DEP_1)
	v_mul_lo_u32 v3, v2, v1
	v_sub_nc_u32_e32 v3, v5, v3
	v_add_nc_u32_e32 v5, 1, v2
	s_delay_alu instid0(VALU_DEP_2) | instskip(SKIP_1) | instid1(VALU_DEP_2)
	v_sub_nc_u32_e32 v7, v3, v1
	v_cmp_ge_u32_e32 vcc_lo, v3, v1
	v_dual_cndmask_b32 v3, v3, v7 :: v_dual_cndmask_b32 v2, v2, v5
	s_delay_alu instid0(VALU_DEP_1) | instskip(NEXT) | instid1(VALU_DEP_2)
	v_cmp_ge_u32_e32 vcc_lo, v3, v1
	v_add_nc_u32_e32 v5, 1, v2
	s_delay_alu instid0(VALU_DEP_1) | instskip(NEXT) | instid1(VALU_DEP_1)
	v_cndmask_b32_e32 v1, v2, v5, vcc_lo
	v_xor_b32_e32 v1, v1, v0
	s_delay_alu instid0(VALU_DEP_1) | instskip(NEXT) | instid1(VALU_DEP_1)
	v_sub_nc_u32_e32 v7, v1, v0
	v_cmpx_lt_i32_e32 1, v7
	s_cbranch_execz .LBB3_481
; %bb.476:
	v_cmp_lt_i32_e32 vcc_lo, 0, v6
	v_dual_mov_b32 v1, 0 :: v_dual_mov_b32 v0, v6
	s_set_inst_prefetch_distance 0x1
	s_branch .LBB3_478
.LBB3_477:                              ;   in Loop: Header=BB3_478 Depth=1
	s_or_b32 exec_lo, exec_lo, s7
	s_add_i32 s6, s6, 1
	v_add_nc_u32_e32 v0, v0, v6
	v_cmp_eq_u32_e64 s0, s6, v7
	s_delay_alu instid0(VALU_DEP_1) | instskip(NEXT) | instid1(SALU_CYCLE_1)
	s_or_b32 s4, s0, s4
	s_and_not1_b32 exec_lo, exec_lo, s4
	s_cbranch_execz .LBB3_481
.LBB3_478:                              ; =>This Loop Header: Depth=1
                                        ;     Child Loop BB3_480 Depth 2
	s_and_saveexec_b32 s7, vcc_lo
	s_cbranch_execz .LBB3_477
; %bb.479:                              ;   in Loop: Header=BB3_478 Depth=1
	v_lshlrev_b64 v[2:3], 2, v[0:1]
	v_dual_mov_b32 v4, v41 :: v_dual_mov_b32 v5, v42
	v_mov_b32_e32 v8, v6
	s_mov_b32 s10, 0
	.p2align	6
.LBB3_480:                              ;   Parent Loop BB3_478 Depth=1
                                        ; =>  This Inner Loop Header: Depth=2
	flat_load_b32 v11, v[4:5]
	v_add_nc_u32_e32 v8, -1, v8
	v_add_co_u32 v9, s0, v4, v2
	s_delay_alu instid0(VALU_DEP_1) | instskip(NEXT) | instid1(VALU_DEP_3)
	v_add_co_ci_u32_e64 v10, s0, v5, v3, s0
	v_cmp_eq_u32_e64 s0, 0, v8
	v_add_co_u32 v4, s1, v4, 4
	s_delay_alu instid0(VALU_DEP_1) | instskip(NEXT) | instid1(VALU_DEP_3)
	v_add_co_ci_u32_e64 v5, s1, 0, v5, s1
	s_or_b32 s10, s0, s10
	s_waitcnt vmcnt(0) lgkmcnt(0)
	flat_store_b32 v[9:10], v11
	s_and_not1_b32 exec_lo, exec_lo, s10
	s_cbranch_execnz .LBB3_480
	s_branch .LBB3_477
.LBB3_481:
	s_set_inst_prefetch_distance 0x2
	s_or_b32 exec_lo, exec_lo, s5
	s_delay_alu instid0(SALU_CYCLE_1)
	s_mov_b32 s0, exec_lo
.LBB3_482:
	s_or_b32 exec_lo, exec_lo, s3
	s_delay_alu instid0(SALU_CYCLE_1)
	s_and_not1_b32 s1, s20, exec_lo
	s_and_b32 s2, s2, exec_lo
	s_and_b32 s19, s0, exec_lo
	s_or_b32 s21, s1, s2
.LBB3_483:
	s_and_not1_saveexec_b32 s17, s17
	s_cbranch_execz .LBB3_485
; %bb.484:
	s_getpc_b64 s[0:1]
	s_add_u32 s0, s0, .str.20@rel32@lo+4
	s_addc_u32 s1, s1, .str.20@rel32@hi+12
	s_getpc_b64 s[2:3]
	s_add_u32 s2, s2, .str.16@rel32@lo+4
	s_addc_u32 s3, s3, .str.16@rel32@hi+12
	s_getpc_b64 s[4:5]
	s_add_u32 s4, s4, __PRETTY_FUNCTION__._ZN3sop13minatoIsopRecEPKjS1_iPNS_3SopEP7VecsMemIjLi8192EE@rel32@lo+4
	s_addc_u32 s5, s5, __PRETTY_FUNCTION__._ZN3sop13minatoIsopRecEPKjS1_iPNS_3SopEP7VecsMemIjLi8192EE@rel32@hi+12
	v_dual_mov_b32 v0, s0 :: v_dual_mov_b32 v1, s1
	v_dual_mov_b32 v2, s2 :: v_dual_mov_b32 v3, s3
	;; [unrolled: 1-line block ×3, first 2 shown]
	v_mov_b32_e32 v6, s5
	s_mov_b64 s[8:9], s[34:35]
	s_getpc_b64 s[6:7]
	s_add_u32 s6, s6, __assert_fail@rel32@lo+4
	s_addc_u32 s7, s7, __assert_fail@rel32@hi+12
	s_delay_alu instid0(SALU_CYCLE_1)
	s_swappc_b64 s[30:31], s[6:7]
	s_mov_b64 s[8:9], s[34:35]
	s_or_b32 s21, s21, exec_lo
.LBB3_485:
	s_or_b32 exec_lo, exec_lo, s17
	s_delay_alu instid0(SALU_CYCLE_1)
	s_and_not1_b32 s0, s20, exec_lo
	s_and_b32 s1, s21, exec_lo
	s_and_b32 s17, s19, exec_lo
	s_or_b32 s20, s0, s1
.LBB3_486:
	s_or_b32 exec_lo, exec_lo, s18
	s_delay_alu instid0(SALU_CYCLE_1)
	s_and_not1_b32 s0, s54, exec_lo
	s_and_b32 s1, s20, exec_lo
	s_and_b32 s57, s17, exec_lo
	s_or_b32 s58, s0, s1
                                        ; implicit-def: $vgpr58_vgpr59
                                        ; implicit-def: $vgpr56_vgpr57
                                        ; implicit-def: $vgpr45
                                        ; implicit-def: $vgpr53
.LBB3_487:
	s_and_not1_saveexec_b32 s59, s37
	s_cbranch_execz .LBB3_492
; %bb.488:
	flat_load_b32 v0, v[58:59]
	flat_load_b32 v1, v[56:57]
	v_dual_mov_b32 v2, v53 :: v_dual_mov_b32 v5, v43
	v_dual_mov_b32 v3, v45 :: v_dual_mov_b32 v4, v46
	v_mov_b32_e32 v6, v44
	s_getpc_b64 s[0:1]
	s_add_u32 s0, s0, _ZN3sop14minatoIsop5RecEjjiPNS_3SopEP7VecsMemIjLi8192EE@rel32@lo+4
	s_addc_u32 s1, s1, _ZN3sop14minatoIsop5RecEjjiPNS_3SopEP7VecsMemIjLi8192EE@rel32@hi+12
	s_mov_b64 s[48:49], s[8:9]
	s_swappc_b64 s[30:31], s[0:1]
	s_and_saveexec_b32 s1, s55
	s_cbranch_execz .LBB3_491
; %bb.489:
	v_dual_mov_b32 v1, v41 :: v_dual_mov_b32 v2, v42
	s_mov_b32 s2, 0
.LBB3_490:                              ; =>This Inner Loop Header: Depth=1
	v_add_nc_u32_e32 v73, -1, v73
	flat_store_b32 v[1:2], v0
	v_add_co_u32 v1, s0, v1, 4
	s_delay_alu instid0(VALU_DEP_1) | instskip(SKIP_2) | instid1(SALU_CYCLE_1)
	v_add_co_ci_u32_e64 v2, s0, 0, v2, s0
	v_cmp_eq_u32_e32 vcc_lo, 0, v73
	s_or_b32 s2, vcc_lo, s2
	s_and_not1_b32 exec_lo, exec_lo, s2
	s_cbranch_execnz .LBB3_490
.LBB3_491:
	s_or_b32 exec_lo, exec_lo, s1
	s_delay_alu instid0(SALU_CYCLE_1)
	s_or_b32 s57, s57, exec_lo
	s_mov_b64 s[8:9], s[48:49]
.LBB3_492:
	s_or_b32 exec_lo, exec_lo, s59
	s_delay_alu instid0(SALU_CYCLE_1) | instskip(SKIP_1) | instid1(SALU_CYCLE_1)
	s_and_not1_b32 s0, s54, exec_lo
	s_and_b32 s1, s58, exec_lo
	s_or_b32 s54, s0, s1
	s_and_b32 s0, s57, exec_lo
.LBB3_493:
	s_or_b32 exec_lo, exec_lo, s56
	s_delay_alu instid0(SALU_CYCLE_1)
	s_and_not1_b32 s1, s43, exec_lo
	s_and_b32 s2, s54, exec_lo
	s_and_b32 s17, s0, exec_lo
	s_or_b32 s20, s1, s2
                                        ; implicit-def: $vgpr45_vgpr46
                                        ; implicit-def: $vgpr43_vgpr44
                                        ; implicit-def: $vgpr73
.LBB3_494:
	s_and_not1_saveexec_b32 s21, s53
	s_cbranch_execz .LBB3_637
; %bb.495:
	v_dual_mov_b32 v0, 0 :: v_dual_mov_b32 v1, 1
	s_mov_b32 s22, s17
	s_mov_b32 s0, exec_lo
	flat_store_b64 v[45:46], v[0:1]
	flat_load_b32 v1, v[43:44]
	s_waitcnt vmcnt(0) lgkmcnt(0)
	v_cmpx_gt_i32_e32 0x2000, v1
	s_xor_b32 s1, exec_lo, s0
	s_cbranch_execz .LBB3_500
; %bb.496:
	v_ashrrev_i32_e32 v2, 31, v1
	s_mov_b32 s2, exec_lo
	s_delay_alu instid0(VALU_DEP_1) | instskip(SKIP_1) | instid1(VALU_DEP_2)
	v_lshlrev_b64 v[2:3], 2, v[1:2]
	v_add_nc_u32_e32 v1, 1, v1
	v_add_co_u32 v2, vcc_lo, v43, v2
	s_delay_alu instid0(VALU_DEP_3) | instskip(NEXT) | instid1(VALU_DEP_2)
	v_add_co_ci_u32_e32 v3, vcc_lo, v44, v3, vcc_lo
	v_add_co_u32 v4, vcc_lo, v2, 4
	s_delay_alu instid0(VALU_DEP_2)
	v_add_co_ci_u32_e32 v5, vcc_lo, 0, v3, vcc_lo
	flat_store_b32 v[43:44], v1
	flat_store_b64 v[45:46], v[4:5] offset:8
	flat_store_b32 v[2:3], v0 offset:4
	v_cmpx_lt_i32_e32 0, v73
	s_cbranch_execz .LBB3_499
; %bb.497:
	v_dual_mov_b32 v2, v0 :: v_dual_add_nc_u32 v1, -1, v73
	s_mov_b32 s3, 0
	v_mov_b32_e32 v3, -1
	s_delay_alu instid0(VALU_DEP_2) | instskip(SKIP_1) | instid1(VALU_DEP_2)
	v_lshlrev_b64 v[0:1], 2, v[1:2]
	v_add_nc_u32_e32 v2, 1, v73
	v_add_co_u32 v0, vcc_lo, v41, v0
	s_delay_alu instid0(VALU_DEP_3)
	v_add_co_ci_u32_e32 v1, vcc_lo, v42, v1, vcc_lo
.LBB3_498:                              ; =>This Inner Loop Header: Depth=1
	s_delay_alu instid0(VALU_DEP_3) | instskip(SKIP_2) | instid1(VALU_DEP_1)
	v_add_nc_u32_e32 v2, -1, v2
	flat_store_b32 v[0:1], v3
	v_add_co_u32 v0, s0, v0, -4
	v_add_co_ci_u32_e64 v1, s0, -1, v1, s0
	v_cmp_gt_u32_e32 vcc_lo, 2, v2
	s_or_b32 s3, vcc_lo, s3
	s_delay_alu instid0(SALU_CYCLE_1)
	s_and_not1_b32 exec_lo, exec_lo, s3
	s_cbranch_execnz .LBB3_498
.LBB3_499:
	s_or_b32 exec_lo, exec_lo, s2
	s_delay_alu instid0(SALU_CYCLE_1)
	s_or_b32 s22, s17, exec_lo
.LBB3_500:
	s_or_saveexec_b32 s23, s1
	s_mov_b32 s0, s20
	s_xor_b32 exec_lo, exec_lo, s23
	s_cbranch_execz .LBB3_636
; %bb.501:
	s_load_b64 s[2:3], s[8:9], 0x50
	v_mbcnt_lo_u32_b32 v29, -1, 0
	v_mov_b32_e32 v6, 0
	v_mov_b32_e32 v7, 0
	s_delay_alu instid0(VALU_DEP_3) | instskip(NEXT) | instid1(VALU_DEP_1)
	v_readfirstlane_b32 s0, v29
	v_cmp_eq_u32_e64 s0, s0, v29
	s_delay_alu instid0(VALU_DEP_1)
	s_and_saveexec_b32 s1, s0
	s_cbranch_execz .LBB3_507
; %bb.502:
	v_mov_b32_e32 v0, 0
	s_mov_b32 s4, exec_lo
	s_waitcnt lgkmcnt(0)
	global_load_b64 v[3:4], v0, s[2:3] offset:24 glc
	s_waitcnt vmcnt(0)
	buffer_gl1_inv
	buffer_gl0_inv
	s_clause 0x1
	global_load_b64 v[1:2], v0, s[2:3] offset:40
	global_load_b64 v[5:6], v0, s[2:3]
	s_waitcnt vmcnt(1)
	v_and_b32_e32 v1, v1, v3
	v_and_b32_e32 v2, v2, v4
	s_delay_alu instid0(VALU_DEP_2) | instskip(NEXT) | instid1(VALU_DEP_2)
	v_mul_hi_u32 v7, v1, 24
	v_mul_lo_u32 v2, v2, 24
	v_mul_lo_u32 v1, v1, 24
	s_delay_alu instid0(VALU_DEP_2) | instskip(SKIP_1) | instid1(VALU_DEP_2)
	v_add_nc_u32_e32 v2, v7, v2
	s_waitcnt vmcnt(0)
	v_add_co_u32 v1, vcc_lo, v5, v1
	s_delay_alu instid0(VALU_DEP_2)
	v_add_co_ci_u32_e32 v2, vcc_lo, v6, v2, vcc_lo
	global_load_b64 v[1:2], v[1:2], off glc
	s_waitcnt vmcnt(0)
	global_atomic_cmpswap_b64 v[6:7], v0, v[1:4], s[2:3] offset:24 glc
	s_waitcnt vmcnt(0)
	buffer_gl1_inv
	buffer_gl0_inv
	v_cmpx_ne_u64_e64 v[6:7], v[3:4]
	s_cbranch_execz .LBB3_506
; %bb.503:
	s_mov_b32 s5, 0
	.p2align	6
.LBB3_504:                              ; =>This Inner Loop Header: Depth=1
	s_sleep 1
	s_clause 0x1
	global_load_b64 v[1:2], v0, s[2:3] offset:40
	global_load_b64 v[8:9], v0, s[2:3]
	v_dual_mov_b32 v3, v6 :: v_dual_mov_b32 v4, v7
	s_waitcnt vmcnt(1)
	s_delay_alu instid0(VALU_DEP_1) | instskip(NEXT) | instid1(VALU_DEP_2)
	v_and_b32_e32 v1, v1, v3
	v_and_b32_e32 v2, v2, v4
	s_waitcnt vmcnt(0)
	s_delay_alu instid0(VALU_DEP_2) | instskip(NEXT) | instid1(VALU_DEP_1)
	v_mad_u64_u32 v[5:6], null, v1, 24, v[8:9]
	v_mov_b32_e32 v1, v6
	s_delay_alu instid0(VALU_DEP_1)
	v_mad_u64_u32 v[6:7], null, v2, 24, v[1:2]
	global_load_b64 v[1:2], v[5:6], off glc
	s_waitcnt vmcnt(0)
	global_atomic_cmpswap_b64 v[6:7], v0, v[1:4], s[2:3] offset:24 glc
	s_waitcnt vmcnt(0)
	buffer_gl1_inv
	buffer_gl0_inv
	v_cmp_eq_u64_e32 vcc_lo, v[6:7], v[3:4]
	s_or_b32 s5, vcc_lo, s5
	s_delay_alu instid0(SALU_CYCLE_1)
	s_and_not1_b32 exec_lo, exec_lo, s5
	s_cbranch_execnz .LBB3_504
; %bb.505:
	s_or_b32 exec_lo, exec_lo, s5
.LBB3_506:
	s_delay_alu instid0(SALU_CYCLE_1)
	s_or_b32 exec_lo, exec_lo, s4
.LBB3_507:
	s_delay_alu instid0(SALU_CYCLE_1)
	s_or_b32 exec_lo, exec_lo, s1
	v_mov_b32_e32 v5, 0
	v_readfirstlane_b32 s4, v6
	v_readfirstlane_b32 s5, v7
	s_mov_b32 s1, exec_lo
	s_waitcnt lgkmcnt(0)
	s_clause 0x1
	global_load_b64 v[8:9], v5, s[2:3] offset:40
	global_load_b128 v[0:3], v5, s[2:3]
	s_waitcnt vmcnt(1)
	v_readfirstlane_b32 s6, v8
	v_readfirstlane_b32 s7, v9
	s_delay_alu instid0(VALU_DEP_1) | instskip(NEXT) | instid1(SALU_CYCLE_1)
	s_and_b64 s[6:7], s[4:5], s[6:7]
	s_mul_i32 s10, s7, 24
	s_mul_hi_u32 s11, s6, 24
	s_mul_i32 s12, s6, 24
	s_add_i32 s11, s11, s10
	s_waitcnt vmcnt(0)
	v_add_co_u32 v8, vcc_lo, v0, s12
	v_add_co_ci_u32_e32 v9, vcc_lo, s11, v1, vcc_lo
	s_and_saveexec_b32 s10, s0
	s_cbranch_execz .LBB3_509
; %bb.508:
	v_dual_mov_b32 v4, s1 :: v_dual_mov_b32 v7, 1
	v_mov_b32_e32 v6, 2
	global_store_b128 v[8:9], v[4:7], off offset:8
.LBB3_509:
	s_or_b32 exec_lo, exec_lo, s10
	s_lshl_b64 s[6:7], s[6:7], 12
	v_dual_mov_b32 v7, v5 :: v_dual_lshlrev_b32 v28, 6, v29
	v_add_co_u32 v2, vcc_lo, v2, s6
	v_add_co_ci_u32_e32 v3, vcc_lo, s7, v3, vcc_lo
	s_mov_b32 s12, 0
	s_delay_alu instid0(VALU_DEP_2)
	v_add_co_u32 v10, vcc_lo, v2, v28
	s_mov_b32 s13, s12
	s_mov_b32 s14, s12
	s_mov_b32 s15, s12
	v_mov_b32_e32 v4, 33
	v_mov_b32_e32 v6, v5
	v_readfirstlane_b32 s6, v2
	v_readfirstlane_b32 s7, v3
	v_dual_mov_b32 v12, s12 :: v_dual_mov_b32 v15, s15
	v_add_co_ci_u32_e32 v11, vcc_lo, 0, v3, vcc_lo
	v_dual_mov_b32 v13, s13 :: v_dual_mov_b32 v14, s14
	s_clause 0x3
	global_store_b128 v28, v[4:7], s[6:7]
	global_store_b128 v28, v[12:15], s[6:7] offset:16
	global_store_b128 v28, v[12:15], s[6:7] offset:32
	;; [unrolled: 1-line block ×3, first 2 shown]
	s_and_saveexec_b32 s1, s0
	s_cbranch_execz .LBB3_517
; %bb.510:
	v_mov_b32_e32 v6, 0
	s_mov_b32 s6, exec_lo
	s_clause 0x1
	global_load_b64 v[14:15], v6, s[2:3] offset:32 glc
	global_load_b64 v[2:3], v6, s[2:3] offset:40
	v_dual_mov_b32 v13, s5 :: v_dual_mov_b32 v12, s4
	s_waitcnt vmcnt(0)
	v_and_b32_e32 v3, s5, v3
	v_and_b32_e32 v2, s4, v2
	s_delay_alu instid0(VALU_DEP_2) | instskip(NEXT) | instid1(VALU_DEP_2)
	v_mul_lo_u32 v3, v3, 24
	v_mul_hi_u32 v4, v2, 24
	v_mul_lo_u32 v2, v2, 24
	s_delay_alu instid0(VALU_DEP_2) | instskip(NEXT) | instid1(VALU_DEP_2)
	v_add_nc_u32_e32 v3, v4, v3
	v_add_co_u32 v4, vcc_lo, v0, v2
	s_delay_alu instid0(VALU_DEP_2)
	v_add_co_ci_u32_e32 v5, vcc_lo, v1, v3, vcc_lo
	global_store_b64 v[4:5], v[14:15], off
	s_waitcnt_vscnt null, 0x0
	global_atomic_cmpswap_b64 v[2:3], v6, v[12:15], s[2:3] offset:32 glc
	s_waitcnt vmcnt(0)
	v_cmpx_ne_u64_e64 v[2:3], v[14:15]
	s_cbranch_execz .LBB3_513
; %bb.511:
	s_mov_b32 s7, 0
.LBB3_512:                              ; =>This Inner Loop Header: Depth=1
	v_dual_mov_b32 v0, s4 :: v_dual_mov_b32 v1, s5
	s_sleep 1
	global_store_b64 v[4:5], v[2:3], off
	s_waitcnt_vscnt null, 0x0
	global_atomic_cmpswap_b64 v[0:1], v6, v[0:3], s[2:3] offset:32 glc
	s_waitcnt vmcnt(0)
	v_cmp_eq_u64_e32 vcc_lo, v[0:1], v[2:3]
	v_dual_mov_b32 v3, v1 :: v_dual_mov_b32 v2, v0
	s_or_b32 s7, vcc_lo, s7
	s_delay_alu instid0(SALU_CYCLE_1)
	s_and_not1_b32 exec_lo, exec_lo, s7
	s_cbranch_execnz .LBB3_512
.LBB3_513:
	s_or_b32 exec_lo, exec_lo, s6
	v_mov_b32_e32 v3, 0
	s_mov_b32 s7, exec_lo
	s_mov_b32 s6, exec_lo
	v_mbcnt_lo_u32_b32 v2, s7, 0
	global_load_b64 v[0:1], v3, s[2:3] offset:16
	v_cmpx_eq_u32_e32 0, v2
	s_cbranch_execz .LBB3_515
; %bb.514:
	s_bcnt1_i32_b32 s7, s7
	s_delay_alu instid0(SALU_CYCLE_1)
	v_mov_b32_e32 v2, s7
	s_waitcnt vmcnt(0)
	global_atomic_add_u64 v[0:1], v[2:3], off offset:8
.LBB3_515:
	s_or_b32 exec_lo, exec_lo, s6
	s_waitcnt vmcnt(0)
	global_load_b64 v[2:3], v[0:1], off offset:16
	s_waitcnt vmcnt(0)
	v_cmp_eq_u64_e32 vcc_lo, 0, v[2:3]
	s_cbranch_vccnz .LBB3_517
; %bb.516:
	global_load_b32 v0, v[0:1], off offset:24
	s_waitcnt vmcnt(0)
	v_dual_mov_b32 v1, 0 :: v_dual_and_b32 v4, 0xffffff, v0
	s_waitcnt_vscnt null, 0x0
	global_store_b64 v[2:3], v[0:1], off
	v_readfirstlane_b32 m0, v4
	s_sendmsg sendmsg(MSG_INTERRUPT)
.LBB3_517:
	s_or_b32 exec_lo, exec_lo, s1
	s_branch .LBB3_521
	.p2align	6
.LBB3_518:                              ;   in Loop: Header=BB3_521 Depth=1
	s_or_b32 exec_lo, exec_lo, s1
	s_delay_alu instid0(VALU_DEP_1) | instskip(NEXT) | instid1(VALU_DEP_1)
	v_readfirstlane_b32 s1, v0
	s_cmp_eq_u32 s1, 0
	s_cbranch_scc1 .LBB3_520
; %bb.519:                              ;   in Loop: Header=BB3_521 Depth=1
	s_sleep 1
	s_cbranch_execnz .LBB3_521
	s_branch .LBB3_523
	.p2align	6
.LBB3_520:
	s_branch .LBB3_523
.LBB3_521:                              ; =>This Inner Loop Header: Depth=1
	v_mov_b32_e32 v0, 1
	s_and_saveexec_b32 s1, s0
	s_cbranch_execz .LBB3_518
; %bb.522:                              ;   in Loop: Header=BB3_521 Depth=1
	global_load_b32 v0, v[8:9], off offset:20 glc
	s_waitcnt vmcnt(0)
	buffer_gl1_inv
	buffer_gl0_inv
	v_and_b32_e32 v0, 1, v0
	s_branch .LBB3_518
.LBB3_523:
	global_load_b64 v[0:1], v[10:11], off
	s_and_saveexec_b32 s1, s0
	s_cbranch_execz .LBB3_527
; %bb.524:
	v_mov_b32_e32 v8, 0
	s_clause 0x2
	global_load_b64 v[4:5], v8, s[2:3] offset:40
	global_load_b64 v[9:10], v8, s[2:3] offset:24 glc
	global_load_b64 v[6:7], v8, s[2:3]
	s_waitcnt vmcnt(2)
	v_add_co_u32 v11, vcc_lo, v4, 1
	v_add_co_ci_u32_e32 v12, vcc_lo, 0, v5, vcc_lo
	s_delay_alu instid0(VALU_DEP_2) | instskip(NEXT) | instid1(VALU_DEP_2)
	v_add_co_u32 v2, vcc_lo, v11, s4
	v_add_co_ci_u32_e32 v3, vcc_lo, s5, v12, vcc_lo
	s_delay_alu instid0(VALU_DEP_1) | instskip(SKIP_1) | instid1(VALU_DEP_1)
	v_cmp_eq_u64_e32 vcc_lo, 0, v[2:3]
	v_dual_cndmask_b32 v3, v3, v12 :: v_dual_cndmask_b32 v2, v2, v11
	v_and_b32_e32 v5, v3, v5
	s_delay_alu instid0(VALU_DEP_2) | instskip(NEXT) | instid1(VALU_DEP_2)
	v_and_b32_e32 v4, v2, v4
	v_mul_lo_u32 v5, v5, 24
	s_delay_alu instid0(VALU_DEP_2) | instskip(SKIP_1) | instid1(VALU_DEP_2)
	v_mul_hi_u32 v11, v4, 24
	v_mul_lo_u32 v4, v4, 24
	v_add_nc_u32_e32 v5, v11, v5
	s_waitcnt vmcnt(0)
	s_delay_alu instid0(VALU_DEP_2) | instskip(SKIP_1) | instid1(VALU_DEP_3)
	v_add_co_u32 v6, vcc_lo, v6, v4
	v_mov_b32_e32 v4, v9
	v_add_co_ci_u32_e32 v7, vcc_lo, v7, v5, vcc_lo
	v_mov_b32_e32 v5, v10
	global_store_b64 v[6:7], v[9:10], off
	s_waitcnt_vscnt null, 0x0
	global_atomic_cmpswap_b64 v[4:5], v8, v[2:5], s[2:3] offset:24 glc
	s_waitcnt vmcnt(0)
	v_cmp_ne_u64_e32 vcc_lo, v[4:5], v[9:10]
	s_and_b32 exec_lo, exec_lo, vcc_lo
	s_cbranch_execz .LBB3_527
; %bb.525:
	s_mov_b32 s0, 0
.LBB3_526:                              ; =>This Inner Loop Header: Depth=1
	s_sleep 1
	global_store_b64 v[6:7], v[4:5], off
	s_waitcnt_vscnt null, 0x0
	global_atomic_cmpswap_b64 v[9:10], v8, v[2:5], s[2:3] offset:24 glc
	s_waitcnt vmcnt(0)
	v_cmp_eq_u64_e32 vcc_lo, v[9:10], v[4:5]
	v_dual_mov_b32 v4, v9 :: v_dual_mov_b32 v5, v10
	s_or_b32 s0, vcc_lo, s0
	s_delay_alu instid0(SALU_CYCLE_1)
	s_and_not1_b32 exec_lo, exec_lo, s0
	s_cbranch_execnz .LBB3_526
.LBB3_527:
	s_or_b32 exec_lo, exec_lo, s1
	s_getpc_b64 s[4:5]
	s_add_u32 s4, s4, .str.28@rel32@lo+4
	s_addc_u32 s5, s5, .str.28@rel32@hi+12
	s_delay_alu instid0(SALU_CYCLE_1)
	s_cmp_lg_u64 s[4:5], 0
	s_cbranch_scc0 .LBB3_606
; %bb.528:
	s_waitcnt vmcnt(0)
	v_dual_mov_b32 v7, v1 :: v_dual_and_b32 v6, -3, v0
	v_dual_mov_b32 v3, 0 :: v_dual_mov_b32 v4, 2
	v_mov_b32_e32 v5, 1
	s_mov_b64 s[6:7], 35
	s_branch .LBB3_530
.LBB3_529:                              ;   in Loop: Header=BB3_530 Depth=1
	s_or_b32 exec_lo, exec_lo, s1
	s_sub_u32 s6, s6, s10
	s_subb_u32 s7, s7, s11
	s_add_u32 s4, s4, s10
	s_addc_u32 s5, s5, s11
	s_cmp_lg_u64 s[6:7], 0
	s_cbranch_scc0 .LBB3_605
.LBB3_530:                              ; =>This Loop Header: Depth=1
                                        ;     Child Loop BB3_539 Depth 2
                                        ;     Child Loop BB3_535 Depth 2
	;; [unrolled: 1-line block ×11, first 2 shown]
	v_cmp_lt_u64_e64 s0, s[6:7], 56
	v_cmp_gt_u64_e64 s1, s[6:7], 7
                                        ; implicit-def: $sgpr16
	s_delay_alu instid0(VALU_DEP_2) | instskip(SKIP_2) | instid1(VALU_DEP_1)
	s_and_b32 s0, s0, exec_lo
	s_cselect_b32 s11, s7, 0
	s_cselect_b32 s10, s6, 56
	s_and_b32 vcc_lo, exec_lo, s1
	s_mov_b32 s0, -1
	s_cbranch_vccz .LBB3_537
; %bb.531:                              ;   in Loop: Header=BB3_530 Depth=1
	s_and_not1_b32 vcc_lo, exec_lo, s0
	s_mov_b64 s[0:1], s[4:5]
	s_cbranch_vccz .LBB3_541
.LBB3_532:                              ;   in Loop: Header=BB3_530 Depth=1
	s_cmp_gt_u32 s16, 7
	s_cbranch_scc1 .LBB3_542
.LBB3_533:                              ;   in Loop: Header=BB3_530 Depth=1
	v_mov_b32_e32 v10, 0
	v_mov_b32_e32 v11, 0
	s_cmp_eq_u32 s16, 0
	s_cbranch_scc1 .LBB3_536
; %bb.534:                              ;   in Loop: Header=BB3_530 Depth=1
	s_mov_b64 s[12:13], 0
	s_mov_b64 s[14:15], 0
.LBB3_535:                              ;   Parent Loop BB3_530 Depth=1
                                        ; =>  This Inner Loop Header: Depth=2
	s_delay_alu instid0(SALU_CYCLE_1)
	s_add_u32 s18, s0, s14
	s_addc_u32 s19, s1, s15
	s_add_u32 s14, s14, 1
	global_load_u8 v2, v3, s[18:19]
	s_addc_u32 s15, s15, 0
	s_waitcnt vmcnt(0)
	v_and_b32_e32 v2, 0xffff, v2
	s_delay_alu instid0(VALU_DEP_1) | instskip(SKIP_3) | instid1(VALU_DEP_1)
	v_lshlrev_b64 v[12:13], s12, v[2:3]
	s_add_u32 s12, s12, 8
	s_addc_u32 s13, s13, 0
	s_cmp_lg_u32 s16, s14
	v_or_b32_e32 v10, v12, v10
	s_delay_alu instid0(VALU_DEP_2)
	v_or_b32_e32 v11, v13, v11
	s_cbranch_scc1 .LBB3_535
.LBB3_536:                              ;   in Loop: Header=BB3_530 Depth=1
	s_mov_b32 s18, 0
	s_cbranch_execz .LBB3_543
	s_branch .LBB3_544
.LBB3_537:                              ;   in Loop: Header=BB3_530 Depth=1
	s_waitcnt vmcnt(0)
	v_mov_b32_e32 v8, 0
	v_mov_b32_e32 v9, 0
	s_cmp_eq_u64 s[6:7], 0
	s_mov_b64 s[0:1], 0
	s_cbranch_scc1 .LBB3_540
; %bb.538:                              ;   in Loop: Header=BB3_530 Depth=1
	v_mov_b32_e32 v8, 0
	v_mov_b32_e32 v9, 0
	s_lshl_b64 s[12:13], s[10:11], 3
	s_mov_b64 s[14:15], s[4:5]
.LBB3_539:                              ;   Parent Loop BB3_530 Depth=1
                                        ; =>  This Inner Loop Header: Depth=2
	global_load_u8 v2, v3, s[14:15]
	s_waitcnt vmcnt(0)
	v_and_b32_e32 v2, 0xffff, v2
	s_delay_alu instid0(VALU_DEP_1)
	v_lshlrev_b64 v[10:11], s0, v[2:3]
	s_add_u32 s0, s0, 8
	s_addc_u32 s1, s1, 0
	s_add_u32 s14, s14, 1
	s_addc_u32 s15, s15, 0
	s_cmp_lg_u32 s12, s0
	v_or_b32_e32 v8, v10, v8
	v_or_b32_e32 v9, v11, v9
	s_cbranch_scc1 .LBB3_539
.LBB3_540:                              ;   in Loop: Header=BB3_530 Depth=1
	s_mov_b32 s16, 0
	s_mov_b64 s[0:1], s[4:5]
	s_cbranch_execnz .LBB3_532
.LBB3_541:                              ;   in Loop: Header=BB3_530 Depth=1
	global_load_b64 v[8:9], v3, s[4:5]
	s_add_i32 s16, s10, -8
	s_add_u32 s0, s4, 8
	s_addc_u32 s1, s5, 0
	s_cmp_gt_u32 s16, 7
	s_cbranch_scc0 .LBB3_533
.LBB3_542:                              ;   in Loop: Header=BB3_530 Depth=1
                                        ; implicit-def: $vgpr10_vgpr11
                                        ; implicit-def: $sgpr18
.LBB3_543:                              ;   in Loop: Header=BB3_530 Depth=1
	global_load_b64 v[10:11], v3, s[0:1]
	s_add_i32 s18, s16, -8
	s_add_u32 s0, s0, 8
	s_addc_u32 s1, s1, 0
.LBB3_544:                              ;   in Loop: Header=BB3_530 Depth=1
	s_cmp_gt_u32 s18, 7
	s_cbranch_scc1 .LBB3_549
; %bb.545:                              ;   in Loop: Header=BB3_530 Depth=1
	v_mov_b32_e32 v12, 0
	v_mov_b32_e32 v13, 0
	s_cmp_eq_u32 s18, 0
	s_cbranch_scc1 .LBB3_548
; %bb.546:                              ;   in Loop: Header=BB3_530 Depth=1
	s_mov_b64 s[12:13], 0
	s_mov_b64 s[14:15], 0
.LBB3_547:                              ;   Parent Loop BB3_530 Depth=1
                                        ; =>  This Inner Loop Header: Depth=2
	s_delay_alu instid0(SALU_CYCLE_1)
	s_add_u32 s24, s0, s14
	s_addc_u32 s25, s1, s15
	s_add_u32 s14, s14, 1
	global_load_u8 v2, v3, s[24:25]
	s_addc_u32 s15, s15, 0
	s_waitcnt vmcnt(0)
	v_and_b32_e32 v2, 0xffff, v2
	s_delay_alu instid0(VALU_DEP_1) | instskip(SKIP_3) | instid1(VALU_DEP_1)
	v_lshlrev_b64 v[14:15], s12, v[2:3]
	s_add_u32 s12, s12, 8
	s_addc_u32 s13, s13, 0
	s_cmp_lg_u32 s18, s14
	v_or_b32_e32 v12, v14, v12
	s_delay_alu instid0(VALU_DEP_2)
	v_or_b32_e32 v13, v15, v13
	s_cbranch_scc1 .LBB3_547
.LBB3_548:                              ;   in Loop: Header=BB3_530 Depth=1
	s_mov_b32 s16, 0
	s_cbranch_execz .LBB3_550
	s_branch .LBB3_551
.LBB3_549:                              ;   in Loop: Header=BB3_530 Depth=1
                                        ; implicit-def: $sgpr16
.LBB3_550:                              ;   in Loop: Header=BB3_530 Depth=1
	global_load_b64 v[12:13], v3, s[0:1]
	s_add_i32 s16, s18, -8
	s_add_u32 s0, s0, 8
	s_addc_u32 s1, s1, 0
.LBB3_551:                              ;   in Loop: Header=BB3_530 Depth=1
	s_cmp_gt_u32 s16, 7
	s_cbranch_scc1 .LBB3_556
; %bb.552:                              ;   in Loop: Header=BB3_530 Depth=1
	v_mov_b32_e32 v14, 0
	v_mov_b32_e32 v15, 0
	s_cmp_eq_u32 s16, 0
	s_cbranch_scc1 .LBB3_555
; %bb.553:                              ;   in Loop: Header=BB3_530 Depth=1
	s_mov_b64 s[12:13], 0
	s_mov_b64 s[14:15], 0
.LBB3_554:                              ;   Parent Loop BB3_530 Depth=1
                                        ; =>  This Inner Loop Header: Depth=2
	s_delay_alu instid0(SALU_CYCLE_1)
	s_add_u32 s18, s0, s14
	s_addc_u32 s19, s1, s15
	s_add_u32 s14, s14, 1
	global_load_u8 v2, v3, s[18:19]
	s_addc_u32 s15, s15, 0
	s_waitcnt vmcnt(0)
	v_and_b32_e32 v2, 0xffff, v2
	s_delay_alu instid0(VALU_DEP_1) | instskip(SKIP_3) | instid1(VALU_DEP_1)
	v_lshlrev_b64 v[16:17], s12, v[2:3]
	s_add_u32 s12, s12, 8
	s_addc_u32 s13, s13, 0
	s_cmp_lg_u32 s16, s14
	v_or_b32_e32 v14, v16, v14
	s_delay_alu instid0(VALU_DEP_2)
	v_or_b32_e32 v15, v17, v15
	s_cbranch_scc1 .LBB3_554
.LBB3_555:                              ;   in Loop: Header=BB3_530 Depth=1
	s_mov_b32 s18, 0
	s_cbranch_execz .LBB3_557
	s_branch .LBB3_558
.LBB3_556:                              ;   in Loop: Header=BB3_530 Depth=1
                                        ; implicit-def: $vgpr14_vgpr15
                                        ; implicit-def: $sgpr18
.LBB3_557:                              ;   in Loop: Header=BB3_530 Depth=1
	global_load_b64 v[14:15], v3, s[0:1]
	s_add_i32 s18, s16, -8
	s_add_u32 s0, s0, 8
	s_addc_u32 s1, s1, 0
.LBB3_558:                              ;   in Loop: Header=BB3_530 Depth=1
	s_cmp_gt_u32 s18, 7
	s_cbranch_scc1 .LBB3_563
; %bb.559:                              ;   in Loop: Header=BB3_530 Depth=1
	v_mov_b32_e32 v16, 0
	v_mov_b32_e32 v17, 0
	s_cmp_eq_u32 s18, 0
	s_cbranch_scc1 .LBB3_562
; %bb.560:                              ;   in Loop: Header=BB3_530 Depth=1
	s_mov_b64 s[12:13], 0
	s_mov_b64 s[14:15], 0
.LBB3_561:                              ;   Parent Loop BB3_530 Depth=1
                                        ; =>  This Inner Loop Header: Depth=2
	s_delay_alu instid0(SALU_CYCLE_1)
	s_add_u32 s24, s0, s14
	s_addc_u32 s25, s1, s15
	s_add_u32 s14, s14, 1
	global_load_u8 v2, v3, s[24:25]
	s_addc_u32 s15, s15, 0
	s_waitcnt vmcnt(0)
	v_and_b32_e32 v2, 0xffff, v2
	s_delay_alu instid0(VALU_DEP_1) | instskip(SKIP_3) | instid1(VALU_DEP_1)
	v_lshlrev_b64 v[18:19], s12, v[2:3]
	s_add_u32 s12, s12, 8
	s_addc_u32 s13, s13, 0
	s_cmp_lg_u32 s18, s14
	v_or_b32_e32 v16, v18, v16
	s_delay_alu instid0(VALU_DEP_2)
	v_or_b32_e32 v17, v19, v17
	s_cbranch_scc1 .LBB3_561
.LBB3_562:                              ;   in Loop: Header=BB3_530 Depth=1
	s_mov_b32 s16, 0
	s_cbranch_execz .LBB3_564
	s_branch .LBB3_565
.LBB3_563:                              ;   in Loop: Header=BB3_530 Depth=1
                                        ; implicit-def: $sgpr16
.LBB3_564:                              ;   in Loop: Header=BB3_530 Depth=1
	global_load_b64 v[16:17], v3, s[0:1]
	s_add_i32 s16, s18, -8
	s_add_u32 s0, s0, 8
	s_addc_u32 s1, s1, 0
.LBB3_565:                              ;   in Loop: Header=BB3_530 Depth=1
	s_cmp_gt_u32 s16, 7
	s_cbranch_scc1 .LBB3_570
; %bb.566:                              ;   in Loop: Header=BB3_530 Depth=1
	v_mov_b32_e32 v18, 0
	v_mov_b32_e32 v19, 0
	s_cmp_eq_u32 s16, 0
	s_cbranch_scc1 .LBB3_569
; %bb.567:                              ;   in Loop: Header=BB3_530 Depth=1
	s_mov_b64 s[12:13], 0
	s_mov_b64 s[14:15], 0
.LBB3_568:                              ;   Parent Loop BB3_530 Depth=1
                                        ; =>  This Inner Loop Header: Depth=2
	s_delay_alu instid0(SALU_CYCLE_1)
	s_add_u32 s18, s0, s14
	s_addc_u32 s19, s1, s15
	s_add_u32 s14, s14, 1
	global_load_u8 v2, v3, s[18:19]
	s_addc_u32 s15, s15, 0
	s_waitcnt vmcnt(0)
	v_and_b32_e32 v2, 0xffff, v2
	s_delay_alu instid0(VALU_DEP_1) | instskip(SKIP_3) | instid1(VALU_DEP_1)
	v_lshlrev_b64 v[20:21], s12, v[2:3]
	s_add_u32 s12, s12, 8
	s_addc_u32 s13, s13, 0
	s_cmp_lg_u32 s16, s14
	v_or_b32_e32 v18, v20, v18
	s_delay_alu instid0(VALU_DEP_2)
	v_or_b32_e32 v19, v21, v19
	s_cbranch_scc1 .LBB3_568
.LBB3_569:                              ;   in Loop: Header=BB3_530 Depth=1
	s_mov_b32 s18, 0
	s_cbranch_execz .LBB3_571
	s_branch .LBB3_572
.LBB3_570:                              ;   in Loop: Header=BB3_530 Depth=1
                                        ; implicit-def: $vgpr18_vgpr19
                                        ; implicit-def: $sgpr18
.LBB3_571:                              ;   in Loop: Header=BB3_530 Depth=1
	global_load_b64 v[18:19], v3, s[0:1]
	s_add_i32 s18, s16, -8
	s_add_u32 s0, s0, 8
	s_addc_u32 s1, s1, 0
.LBB3_572:                              ;   in Loop: Header=BB3_530 Depth=1
	s_cmp_gt_u32 s18, 7
	s_cbranch_scc1 .LBB3_577
; %bb.573:                              ;   in Loop: Header=BB3_530 Depth=1
	v_mov_b32_e32 v20, 0
	v_mov_b32_e32 v21, 0
	s_cmp_eq_u32 s18, 0
	s_cbranch_scc1 .LBB3_576
; %bb.574:                              ;   in Loop: Header=BB3_530 Depth=1
	s_mov_b64 s[12:13], 0
	s_mov_b64 s[14:15], s[0:1]
.LBB3_575:                              ;   Parent Loop BB3_530 Depth=1
                                        ; =>  This Inner Loop Header: Depth=2
	global_load_u8 v2, v3, s[14:15]
	s_add_i32 s18, s18, -1
	s_waitcnt vmcnt(0)
	v_and_b32_e32 v2, 0xffff, v2
	s_delay_alu instid0(VALU_DEP_1)
	v_lshlrev_b64 v[22:23], s12, v[2:3]
	s_add_u32 s12, s12, 8
	s_addc_u32 s13, s13, 0
	s_add_u32 s14, s14, 1
	s_addc_u32 s15, s15, 0
	s_cmp_lg_u32 s18, 0
	v_or_b32_e32 v20, v22, v20
	v_or_b32_e32 v21, v23, v21
	s_cbranch_scc1 .LBB3_575
.LBB3_576:                              ;   in Loop: Header=BB3_530 Depth=1
	s_cbranch_execz .LBB3_578
	s_branch .LBB3_579
.LBB3_577:                              ;   in Loop: Header=BB3_530 Depth=1
.LBB3_578:                              ;   in Loop: Header=BB3_530 Depth=1
	global_load_b64 v[20:21], v3, s[0:1]
.LBB3_579:                              ;   in Loop: Header=BB3_530 Depth=1
	v_readfirstlane_b32 s0, v29
	v_mov_b32_e32 v26, 0
	v_mov_b32_e32 v27, 0
	s_delay_alu instid0(VALU_DEP_3) | instskip(NEXT) | instid1(VALU_DEP_1)
	v_cmp_eq_u32_e64 s0, s0, v29
	s_and_saveexec_b32 s1, s0
	s_cbranch_execz .LBB3_585
; %bb.580:                              ;   in Loop: Header=BB3_530 Depth=1
	global_load_b64 v[24:25], v3, s[2:3] offset:24 glc
	s_waitcnt vmcnt(0)
	buffer_gl1_inv
	buffer_gl0_inv
	s_clause 0x1
	global_load_b64 v[22:23], v3, s[2:3] offset:40
	global_load_b64 v[26:27], v3, s[2:3]
	s_mov_b32 s12, exec_lo
	s_waitcnt vmcnt(1)
	v_and_b32_e32 v2, v23, v25
	v_and_b32_e32 v22, v22, v24
	s_delay_alu instid0(VALU_DEP_2) | instskip(NEXT) | instid1(VALU_DEP_2)
	v_mul_lo_u32 v2, v2, 24
	v_mul_hi_u32 v23, v22, 24
	v_mul_lo_u32 v22, v22, 24
	s_delay_alu instid0(VALU_DEP_2) | instskip(SKIP_1) | instid1(VALU_DEP_2)
	v_add_nc_u32_e32 v2, v23, v2
	s_waitcnt vmcnt(0)
	v_add_co_u32 v22, vcc_lo, v26, v22
	s_delay_alu instid0(VALU_DEP_2)
	v_add_co_ci_u32_e32 v23, vcc_lo, v27, v2, vcc_lo
	global_load_b64 v[22:23], v[22:23], off glc
	s_waitcnt vmcnt(0)
	global_atomic_cmpswap_b64 v[26:27], v3, v[22:25], s[2:3] offset:24 glc
	s_waitcnt vmcnt(0)
	buffer_gl1_inv
	buffer_gl0_inv
	v_cmpx_ne_u64_e64 v[26:27], v[24:25]
	s_cbranch_execz .LBB3_584
; %bb.581:                              ;   in Loop: Header=BB3_530 Depth=1
	s_mov_b32 s13, 0
	.p2align	6
.LBB3_582:                              ;   Parent Loop BB3_530 Depth=1
                                        ; =>  This Inner Loop Header: Depth=2
	s_sleep 1
	s_clause 0x1
	global_load_b64 v[22:23], v3, s[2:3] offset:40
	global_load_b64 v[30:31], v3, s[2:3]
	v_dual_mov_b32 v24, v26 :: v_dual_mov_b32 v25, v27
	s_waitcnt vmcnt(1)
	s_delay_alu instid0(VALU_DEP_1) | instskip(SKIP_1) | instid1(VALU_DEP_1)
	v_and_b32_e32 v2, v22, v24
	s_waitcnt vmcnt(0)
	v_mad_u64_u32 v[26:27], null, v2, 24, v[30:31]
	v_and_b32_e32 v30, v23, v25
	s_delay_alu instid0(VALU_DEP_2) | instskip(NEXT) | instid1(VALU_DEP_1)
	v_mov_b32_e32 v2, v27
	v_mad_u64_u32 v[22:23], null, v30, 24, v[2:3]
	s_delay_alu instid0(VALU_DEP_1)
	v_mov_b32_e32 v27, v22
	global_load_b64 v[22:23], v[26:27], off glc
	s_waitcnt vmcnt(0)
	global_atomic_cmpswap_b64 v[26:27], v3, v[22:25], s[2:3] offset:24 glc
	s_waitcnt vmcnt(0)
	buffer_gl1_inv
	buffer_gl0_inv
	v_cmp_eq_u64_e32 vcc_lo, v[26:27], v[24:25]
	s_or_b32 s13, vcc_lo, s13
	s_delay_alu instid0(SALU_CYCLE_1)
	s_and_not1_b32 exec_lo, exec_lo, s13
	s_cbranch_execnz .LBB3_582
; %bb.583:                              ;   in Loop: Header=BB3_530 Depth=1
	s_or_b32 exec_lo, exec_lo, s13
.LBB3_584:                              ;   in Loop: Header=BB3_530 Depth=1
	s_delay_alu instid0(SALU_CYCLE_1)
	s_or_b32 exec_lo, exec_lo, s12
.LBB3_585:                              ;   in Loop: Header=BB3_530 Depth=1
	s_delay_alu instid0(SALU_CYCLE_1)
	s_or_b32 exec_lo, exec_lo, s1
	s_clause 0x1
	global_load_b64 v[30:31], v3, s[2:3] offset:40
	global_load_b128 v[22:25], v3, s[2:3]
	v_readfirstlane_b32 s12, v26
	v_readfirstlane_b32 s13, v27
	s_mov_b32 s1, exec_lo
	s_waitcnt vmcnt(1)
	v_readfirstlane_b32 s14, v30
	v_readfirstlane_b32 s15, v31
	s_delay_alu instid0(VALU_DEP_1) | instskip(NEXT) | instid1(SALU_CYCLE_1)
	s_and_b64 s[14:15], s[12:13], s[14:15]
	s_mul_i32 s16, s15, 24
	s_mul_hi_u32 s18, s14, 24
	s_mul_i32 s19, s14, 24
	s_add_i32 s18, s18, s16
	s_waitcnt vmcnt(0)
	v_add_co_u32 v26, vcc_lo, v22, s19
	v_add_co_ci_u32_e32 v27, vcc_lo, s18, v23, vcc_lo
	s_and_saveexec_b32 s16, s0
	s_cbranch_execz .LBB3_587
; %bb.586:                              ;   in Loop: Header=BB3_530 Depth=1
	v_mov_b32_e32 v2, s1
	global_store_b128 v[26:27], v[2:5], off offset:8
.LBB3_587:                              ;   in Loop: Header=BB3_530 Depth=1
	s_or_b32 exec_lo, exec_lo, s16
	s_lshl_b64 s[14:15], s[14:15], 12
	v_or_b32_e32 v2, 2, v6
	v_add_co_u32 v24, vcc_lo, v24, s14
	v_add_co_ci_u32_e32 v25, vcc_lo, s15, v25, vcc_lo
	v_cmp_gt_u64_e64 vcc_lo, s[6:7], 56
	s_lshl_b32 s1, s10, 2
	s_delay_alu instid0(VALU_DEP_3) | instskip(SKIP_4) | instid1(VALU_DEP_1)
	v_readfirstlane_b32 s14, v24
	s_add_i32 s1, s1, 28
	v_readfirstlane_b32 s15, v25
	s_and_b32 s1, s1, 0x1e0
	v_cndmask_b32_e32 v2, v2, v6, vcc_lo
	v_and_or_b32 v6, 0xffffff1f, v2, s1
	s_clause 0x3
	global_store_b128 v28, v[6:9], s[14:15]
	global_store_b128 v28, v[10:13], s[14:15] offset:16
	global_store_b128 v28, v[14:17], s[14:15] offset:32
	;; [unrolled: 1-line block ×3, first 2 shown]
	s_and_saveexec_b32 s1, s0
	s_cbranch_execz .LBB3_595
; %bb.588:                              ;   in Loop: Header=BB3_530 Depth=1
	s_clause 0x1
	global_load_b64 v[14:15], v3, s[2:3] offset:32 glc
	global_load_b64 v[6:7], v3, s[2:3] offset:40
	v_dual_mov_b32 v12, s12 :: v_dual_mov_b32 v13, s13
	s_waitcnt vmcnt(0)
	v_readfirstlane_b32 s14, v6
	v_readfirstlane_b32 s15, v7
	s_delay_alu instid0(VALU_DEP_1) | instskip(NEXT) | instid1(SALU_CYCLE_1)
	s_and_b64 s[14:15], s[14:15], s[12:13]
	s_mul_i32 s15, s15, 24
	s_mul_hi_u32 s16, s14, 24
	s_mul_i32 s14, s14, 24
	s_add_i32 s16, s16, s15
	v_add_co_u32 v10, vcc_lo, v22, s14
	v_add_co_ci_u32_e32 v11, vcc_lo, s16, v23, vcc_lo
	s_mov_b32 s14, exec_lo
	global_store_b64 v[10:11], v[14:15], off
	s_waitcnt_vscnt null, 0x0
	global_atomic_cmpswap_b64 v[8:9], v3, v[12:15], s[2:3] offset:32 glc
	s_waitcnt vmcnt(0)
	v_cmpx_ne_u64_e64 v[8:9], v[14:15]
	s_cbranch_execz .LBB3_591
; %bb.589:                              ;   in Loop: Header=BB3_530 Depth=1
	s_mov_b32 s15, 0
.LBB3_590:                              ;   Parent Loop BB3_530 Depth=1
                                        ; =>  This Inner Loop Header: Depth=2
	v_dual_mov_b32 v6, s12 :: v_dual_mov_b32 v7, s13
	s_sleep 1
	global_store_b64 v[10:11], v[8:9], off
	s_waitcnt_vscnt null, 0x0
	global_atomic_cmpswap_b64 v[6:7], v3, v[6:9], s[2:3] offset:32 glc
	s_waitcnt vmcnt(0)
	v_cmp_eq_u64_e32 vcc_lo, v[6:7], v[8:9]
	v_dual_mov_b32 v9, v7 :: v_dual_mov_b32 v8, v6
	s_or_b32 s15, vcc_lo, s15
	s_delay_alu instid0(SALU_CYCLE_1)
	s_and_not1_b32 exec_lo, exec_lo, s15
	s_cbranch_execnz .LBB3_590
.LBB3_591:                              ;   in Loop: Header=BB3_530 Depth=1
	s_or_b32 exec_lo, exec_lo, s14
	global_load_b64 v[6:7], v3, s[2:3] offset:16
	s_mov_b32 s15, exec_lo
	s_mov_b32 s14, exec_lo
	v_mbcnt_lo_u32_b32 v2, s15, 0
	s_delay_alu instid0(VALU_DEP_1)
	v_cmpx_eq_u32_e32 0, v2
	s_cbranch_execz .LBB3_593
; %bb.592:                              ;   in Loop: Header=BB3_530 Depth=1
	s_bcnt1_i32_b32 s15, s15
	s_delay_alu instid0(SALU_CYCLE_1)
	v_mov_b32_e32 v2, s15
	s_waitcnt vmcnt(0)
	global_atomic_add_u64 v[6:7], v[2:3], off offset:8
.LBB3_593:                              ;   in Loop: Header=BB3_530 Depth=1
	s_or_b32 exec_lo, exec_lo, s14
	s_waitcnt vmcnt(0)
	global_load_b64 v[8:9], v[6:7], off offset:16
	s_waitcnt vmcnt(0)
	v_cmp_eq_u64_e32 vcc_lo, 0, v[8:9]
	s_cbranch_vccnz .LBB3_595
; %bb.594:                              ;   in Loop: Header=BB3_530 Depth=1
	global_load_b32 v2, v[6:7], off offset:24
	s_waitcnt vmcnt(0)
	v_and_b32_e32 v6, 0xffffff, v2
	s_waitcnt_vscnt null, 0x0
	global_store_b64 v[8:9], v[2:3], off
	v_readfirstlane_b32 m0, v6
	s_sendmsg sendmsg(MSG_INTERRUPT)
.LBB3_595:                              ;   in Loop: Header=BB3_530 Depth=1
	s_or_b32 exec_lo, exec_lo, s1
	v_add_co_u32 v6, vcc_lo, v24, v28
	v_add_co_ci_u32_e32 v7, vcc_lo, 0, v25, vcc_lo
	s_branch .LBB3_599
	.p2align	6
.LBB3_596:                              ;   in Loop: Header=BB3_599 Depth=2
	s_or_b32 exec_lo, exec_lo, s1
	s_delay_alu instid0(VALU_DEP_1) | instskip(NEXT) | instid1(VALU_DEP_1)
	v_readfirstlane_b32 s1, v2
	s_cmp_eq_u32 s1, 0
	s_cbranch_scc1 .LBB3_598
; %bb.597:                              ;   in Loop: Header=BB3_599 Depth=2
	s_sleep 1
	s_cbranch_execnz .LBB3_599
	s_branch .LBB3_601
	.p2align	6
.LBB3_598:                              ;   in Loop: Header=BB3_530 Depth=1
	s_branch .LBB3_601
.LBB3_599:                              ;   Parent Loop BB3_530 Depth=1
                                        ; =>  This Inner Loop Header: Depth=2
	v_mov_b32_e32 v2, 1
	s_and_saveexec_b32 s1, s0
	s_cbranch_execz .LBB3_596
; %bb.600:                              ;   in Loop: Header=BB3_599 Depth=2
	global_load_b32 v2, v[26:27], off offset:20 glc
	s_waitcnt vmcnt(0)
	buffer_gl1_inv
	buffer_gl0_inv
	v_and_b32_e32 v2, 1, v2
	s_branch .LBB3_596
.LBB3_601:                              ;   in Loop: Header=BB3_530 Depth=1
	global_load_b128 v[6:9], v[6:7], off
	s_and_saveexec_b32 s1, s0
	s_cbranch_execz .LBB3_529
; %bb.602:                              ;   in Loop: Header=BB3_530 Depth=1
	s_clause 0x2
	global_load_b64 v[10:11], v3, s[2:3] offset:40
	global_load_b64 v[14:15], v3, s[2:3] offset:24 glc
	global_load_b64 v[12:13], v3, s[2:3]
	s_waitcnt vmcnt(2)
	v_add_co_u32 v2, vcc_lo, v10, 1
	v_add_co_ci_u32_e32 v16, vcc_lo, 0, v11, vcc_lo
	s_delay_alu instid0(VALU_DEP_2) | instskip(NEXT) | instid1(VALU_DEP_2)
	v_add_co_u32 v8, vcc_lo, v2, s12
	v_add_co_ci_u32_e32 v9, vcc_lo, s13, v16, vcc_lo
	s_delay_alu instid0(VALU_DEP_1) | instskip(SKIP_1) | instid1(VALU_DEP_1)
	v_cmp_eq_u64_e32 vcc_lo, 0, v[8:9]
	v_dual_cndmask_b32 v9, v9, v16 :: v_dual_cndmask_b32 v8, v8, v2
	v_and_b32_e32 v2, v9, v11
	s_delay_alu instid0(VALU_DEP_2) | instskip(NEXT) | instid1(VALU_DEP_2)
	v_and_b32_e32 v10, v8, v10
	v_mul_lo_u32 v2, v2, 24
	s_delay_alu instid0(VALU_DEP_2) | instskip(SKIP_1) | instid1(VALU_DEP_2)
	v_mul_hi_u32 v11, v10, 24
	v_mul_lo_u32 v10, v10, 24
	v_add_nc_u32_e32 v2, v11, v2
	s_waitcnt vmcnt(1)
	v_mov_b32_e32 v11, v15
	s_waitcnt vmcnt(0)
	s_delay_alu instid0(VALU_DEP_3)
	v_add_co_u32 v12, vcc_lo, v12, v10
	v_mov_b32_e32 v10, v14
	v_add_co_ci_u32_e32 v13, vcc_lo, v13, v2, vcc_lo
	global_store_b64 v[12:13], v[14:15], off
	s_waitcnt_vscnt null, 0x0
	global_atomic_cmpswap_b64 v[10:11], v3, v[8:11], s[2:3] offset:24 glc
	s_waitcnt vmcnt(0)
	v_cmp_ne_u64_e32 vcc_lo, v[10:11], v[14:15]
	s_and_b32 exec_lo, exec_lo, vcc_lo
	s_cbranch_execz .LBB3_529
; %bb.603:                              ;   in Loop: Header=BB3_530 Depth=1
	s_mov_b32 s0, 0
.LBB3_604:                              ;   Parent Loop BB3_530 Depth=1
                                        ; =>  This Inner Loop Header: Depth=2
	s_sleep 1
	global_store_b64 v[12:13], v[10:11], off
	s_waitcnt_vscnt null, 0x0
	global_atomic_cmpswap_b64 v[14:15], v3, v[8:11], s[2:3] offset:24 glc
	s_waitcnt vmcnt(0)
	v_cmp_eq_u64_e32 vcc_lo, v[14:15], v[10:11]
	v_dual_mov_b32 v10, v14 :: v_dual_mov_b32 v11, v15
	s_or_b32 s0, vcc_lo, s0
	s_delay_alu instid0(SALU_CYCLE_1)
	s_and_not1_b32 exec_lo, exec_lo, s0
	s_cbranch_execnz .LBB3_604
	s_branch .LBB3_529
.LBB3_605:
	s_mov_b32 s0, 0
	s_branch .LBB3_607
.LBB3_606:
	s_mov_b32 s0, -1
.LBB3_607:
	s_delay_alu instid0(SALU_CYCLE_1)
	s_and_b32 vcc_lo, exec_lo, s0
	s_cbranch_vccz .LBB3_635
; %bb.608:
	v_readfirstlane_b32 s0, v29
	s_waitcnt vmcnt(0)
	v_mov_b32_e32 v8, 0
	v_mov_b32_e32 v9, 0
	s_delay_alu instid0(VALU_DEP_3) | instskip(NEXT) | instid1(VALU_DEP_1)
	v_cmp_eq_u32_e64 s0, s0, v29
	s_and_saveexec_b32 s1, s0
	s_cbranch_execz .LBB3_614
; %bb.609:
	v_mov_b32_e32 v2, 0
	s_mov_b32 s4, exec_lo
	global_load_b64 v[5:6], v2, s[2:3] offset:24 glc
	s_waitcnt vmcnt(0)
	buffer_gl1_inv
	buffer_gl0_inv
	s_clause 0x1
	global_load_b64 v[3:4], v2, s[2:3] offset:40
	global_load_b64 v[7:8], v2, s[2:3]
	s_waitcnt vmcnt(1)
	v_and_b32_e32 v3, v3, v5
	v_and_b32_e32 v4, v4, v6
	s_delay_alu instid0(VALU_DEP_2) | instskip(NEXT) | instid1(VALU_DEP_2)
	v_mul_hi_u32 v9, v3, 24
	v_mul_lo_u32 v4, v4, 24
	v_mul_lo_u32 v3, v3, 24
	s_delay_alu instid0(VALU_DEP_2) | instskip(SKIP_1) | instid1(VALU_DEP_2)
	v_add_nc_u32_e32 v4, v9, v4
	s_waitcnt vmcnt(0)
	v_add_co_u32 v3, vcc_lo, v7, v3
	s_delay_alu instid0(VALU_DEP_2)
	v_add_co_ci_u32_e32 v4, vcc_lo, v8, v4, vcc_lo
	global_load_b64 v[3:4], v[3:4], off glc
	s_waitcnt vmcnt(0)
	global_atomic_cmpswap_b64 v[8:9], v2, v[3:6], s[2:3] offset:24 glc
	s_waitcnt vmcnt(0)
	buffer_gl1_inv
	buffer_gl0_inv
	v_cmpx_ne_u64_e64 v[8:9], v[5:6]
	s_cbranch_execz .LBB3_613
; %bb.610:
	s_mov_b32 s5, 0
.LBB3_611:                              ; =>This Inner Loop Header: Depth=1
	s_sleep 1
	s_clause 0x1
	global_load_b64 v[3:4], v2, s[2:3] offset:40
	global_load_b64 v[10:11], v2, s[2:3]
	v_dual_mov_b32 v5, v8 :: v_dual_mov_b32 v6, v9
	s_waitcnt vmcnt(1)
	s_delay_alu instid0(VALU_DEP_1) | instskip(NEXT) | instid1(VALU_DEP_2)
	v_and_b32_e32 v3, v3, v5
	v_and_b32_e32 v4, v4, v6
	s_waitcnt vmcnt(0)
	s_delay_alu instid0(VALU_DEP_2) | instskip(NEXT) | instid1(VALU_DEP_1)
	v_mad_u64_u32 v[7:8], null, v3, 24, v[10:11]
	v_mov_b32_e32 v3, v8
	s_delay_alu instid0(VALU_DEP_1)
	v_mad_u64_u32 v[8:9], null, v4, 24, v[3:4]
	global_load_b64 v[3:4], v[7:8], off glc
	s_waitcnt vmcnt(0)
	global_atomic_cmpswap_b64 v[8:9], v2, v[3:6], s[2:3] offset:24 glc
	s_waitcnt vmcnt(0)
	buffer_gl1_inv
	buffer_gl0_inv
	v_cmp_eq_u64_e32 vcc_lo, v[8:9], v[5:6]
	s_or_b32 s5, vcc_lo, s5
	s_delay_alu instid0(SALU_CYCLE_1)
	s_and_not1_b32 exec_lo, exec_lo, s5
	s_cbranch_execnz .LBB3_611
; %bb.612:
	s_or_b32 exec_lo, exec_lo, s5
.LBB3_613:
	s_delay_alu instid0(SALU_CYCLE_1)
	s_or_b32 exec_lo, exec_lo, s4
.LBB3_614:
	s_delay_alu instid0(SALU_CYCLE_1)
	s_or_b32 exec_lo, exec_lo, s1
	v_mov_b32_e32 v2, 0
	v_readfirstlane_b32 s4, v8
	v_readfirstlane_b32 s5, v9
	s_mov_b32 s1, exec_lo
	s_clause 0x1
	global_load_b64 v[10:11], v2, s[2:3] offset:40
	global_load_b128 v[4:7], v2, s[2:3]
	s_waitcnt vmcnt(1)
	v_readfirstlane_b32 s6, v10
	v_readfirstlane_b32 s7, v11
	s_delay_alu instid0(VALU_DEP_1) | instskip(NEXT) | instid1(SALU_CYCLE_1)
	s_and_b64 s[6:7], s[4:5], s[6:7]
	s_mul_i32 s10, s7, 24
	s_mul_hi_u32 s11, s6, 24
	s_mul_i32 s12, s6, 24
	s_add_i32 s11, s11, s10
	s_waitcnt vmcnt(0)
	v_add_co_u32 v8, vcc_lo, v4, s12
	v_add_co_ci_u32_e32 v9, vcc_lo, s11, v5, vcc_lo
	s_and_saveexec_b32 s10, s0
	s_cbranch_execz .LBB3_616
; %bb.615:
	v_dual_mov_b32 v10, s1 :: v_dual_mov_b32 v11, v2
	v_dual_mov_b32 v12, 2 :: v_dual_mov_b32 v13, 1
	global_store_b128 v[8:9], v[10:13], off offset:8
.LBB3_616:
	s_or_b32 exec_lo, exec_lo, s10
	s_lshl_b64 s[6:7], s[6:7], 12
	s_mov_b32 s12, 0
	v_add_co_u32 v6, vcc_lo, v6, s6
	v_add_co_ci_u32_e32 v7, vcc_lo, s7, v7, vcc_lo
	s_mov_b32 s13, s12
	s_mov_b32 s14, s12
	;; [unrolled: 1-line block ×3, first 2 shown]
	v_and_or_b32 v0, 0xffffff1d, v0, 34
	v_dual_mov_b32 v3, v2 :: v_dual_mov_b32 v10, s12
	v_readfirstlane_b32 s6, v6
	v_readfirstlane_b32 s7, v7
	v_dual_mov_b32 v11, s13 :: v_dual_mov_b32 v12, s14
	v_mov_b32_e32 v13, s15
	s_clause 0x3
	global_store_b128 v28, v[0:3], s[6:7]
	global_store_b128 v28, v[10:13], s[6:7] offset:16
	global_store_b128 v28, v[10:13], s[6:7] offset:32
	global_store_b128 v28, v[10:13], s[6:7] offset:48
	s_and_saveexec_b32 s1, s0
	s_cbranch_execz .LBB3_624
; %bb.617:
	v_dual_mov_b32 v6, 0 :: v_dual_mov_b32 v11, s5
	v_mov_b32_e32 v10, s4
	s_clause 0x1
	global_load_b64 v[12:13], v6, s[2:3] offset:32 glc
	global_load_b64 v[0:1], v6, s[2:3] offset:40
	s_waitcnt vmcnt(0)
	v_readfirstlane_b32 s6, v0
	v_readfirstlane_b32 s7, v1
	s_delay_alu instid0(VALU_DEP_1) | instskip(NEXT) | instid1(SALU_CYCLE_1)
	s_and_b64 s[6:7], s[6:7], s[4:5]
	s_mul_i32 s7, s7, 24
	s_mul_hi_u32 s10, s6, 24
	s_mul_i32 s6, s6, 24
	s_add_i32 s10, s10, s7
	v_add_co_u32 v4, vcc_lo, v4, s6
	v_add_co_ci_u32_e32 v5, vcc_lo, s10, v5, vcc_lo
	s_mov_b32 s6, exec_lo
	global_store_b64 v[4:5], v[12:13], off
	s_waitcnt_vscnt null, 0x0
	global_atomic_cmpswap_b64 v[2:3], v6, v[10:13], s[2:3] offset:32 glc
	s_waitcnt vmcnt(0)
	v_cmpx_ne_u64_e64 v[2:3], v[12:13]
	s_cbranch_execz .LBB3_620
; %bb.618:
	s_mov_b32 s7, 0
.LBB3_619:                              ; =>This Inner Loop Header: Depth=1
	v_dual_mov_b32 v0, s4 :: v_dual_mov_b32 v1, s5
	s_sleep 1
	global_store_b64 v[4:5], v[2:3], off
	s_waitcnt_vscnt null, 0x0
	global_atomic_cmpswap_b64 v[0:1], v6, v[0:3], s[2:3] offset:32 glc
	s_waitcnt vmcnt(0)
	v_cmp_eq_u64_e32 vcc_lo, v[0:1], v[2:3]
	v_dual_mov_b32 v3, v1 :: v_dual_mov_b32 v2, v0
	s_or_b32 s7, vcc_lo, s7
	s_delay_alu instid0(SALU_CYCLE_1)
	s_and_not1_b32 exec_lo, exec_lo, s7
	s_cbranch_execnz .LBB3_619
.LBB3_620:
	s_or_b32 exec_lo, exec_lo, s6
	v_mov_b32_e32 v3, 0
	s_mov_b32 s7, exec_lo
	s_mov_b32 s6, exec_lo
	v_mbcnt_lo_u32_b32 v2, s7, 0
	global_load_b64 v[0:1], v3, s[2:3] offset:16
	v_cmpx_eq_u32_e32 0, v2
	s_cbranch_execz .LBB3_622
; %bb.621:
	s_bcnt1_i32_b32 s7, s7
	s_delay_alu instid0(SALU_CYCLE_1)
	v_mov_b32_e32 v2, s7
	s_waitcnt vmcnt(0)
	global_atomic_add_u64 v[0:1], v[2:3], off offset:8
.LBB3_622:
	s_or_b32 exec_lo, exec_lo, s6
	s_waitcnt vmcnt(0)
	global_load_b64 v[2:3], v[0:1], off offset:16
	s_waitcnt vmcnt(0)
	v_cmp_eq_u64_e32 vcc_lo, 0, v[2:3]
	s_cbranch_vccnz .LBB3_624
; %bb.623:
	global_load_b32 v0, v[0:1], off offset:24
	s_waitcnt vmcnt(0)
	v_dual_mov_b32 v1, 0 :: v_dual_and_b32 v4, 0xffffff, v0
	s_waitcnt_vscnt null, 0x0
	global_store_b64 v[2:3], v[0:1], off
	v_readfirstlane_b32 m0, v4
	s_sendmsg sendmsg(MSG_INTERRUPT)
.LBB3_624:
	s_or_b32 exec_lo, exec_lo, s1
	s_branch .LBB3_628
	.p2align	6
.LBB3_625:                              ;   in Loop: Header=BB3_628 Depth=1
	s_or_b32 exec_lo, exec_lo, s1
	s_delay_alu instid0(VALU_DEP_1) | instskip(NEXT) | instid1(VALU_DEP_1)
	v_readfirstlane_b32 s1, v0
	s_cmp_eq_u32 s1, 0
	s_cbranch_scc1 .LBB3_627
; %bb.626:                              ;   in Loop: Header=BB3_628 Depth=1
	s_sleep 1
	s_cbranch_execnz .LBB3_628
	s_branch .LBB3_630
.LBB3_627:
	s_branch .LBB3_630
.LBB3_628:                              ; =>This Inner Loop Header: Depth=1
	v_mov_b32_e32 v0, 1
	s_and_saveexec_b32 s1, s0
	s_cbranch_execz .LBB3_625
; %bb.629:                              ;   in Loop: Header=BB3_628 Depth=1
	global_load_b32 v0, v[8:9], off offset:20 glc
	s_waitcnt vmcnt(0)
	buffer_gl1_inv
	buffer_gl0_inv
	v_and_b32_e32 v0, 1, v0
	s_branch .LBB3_625
.LBB3_630:
	s_and_saveexec_b32 s1, s0
	s_cbranch_execz .LBB3_634
; %bb.631:
	v_mov_b32_e32 v6, 0
	s_clause 0x2
	global_load_b64 v[2:3], v6, s[2:3] offset:40
	global_load_b64 v[7:8], v6, s[2:3] offset:24 glc
	global_load_b64 v[4:5], v6, s[2:3]
	s_waitcnt vmcnt(2)
	v_add_co_u32 v9, vcc_lo, v2, 1
	v_add_co_ci_u32_e32 v10, vcc_lo, 0, v3, vcc_lo
	s_delay_alu instid0(VALU_DEP_2) | instskip(NEXT) | instid1(VALU_DEP_2)
	v_add_co_u32 v0, vcc_lo, v9, s4
	v_add_co_ci_u32_e32 v1, vcc_lo, s5, v10, vcc_lo
	s_delay_alu instid0(VALU_DEP_1) | instskip(SKIP_1) | instid1(VALU_DEP_1)
	v_cmp_eq_u64_e32 vcc_lo, 0, v[0:1]
	v_dual_cndmask_b32 v1, v1, v10 :: v_dual_cndmask_b32 v0, v0, v9
	v_and_b32_e32 v3, v1, v3
	s_delay_alu instid0(VALU_DEP_2) | instskip(NEXT) | instid1(VALU_DEP_2)
	v_and_b32_e32 v2, v0, v2
	v_mul_lo_u32 v3, v3, 24
	s_delay_alu instid0(VALU_DEP_2) | instskip(SKIP_1) | instid1(VALU_DEP_2)
	v_mul_hi_u32 v9, v2, 24
	v_mul_lo_u32 v2, v2, 24
	v_add_nc_u32_e32 v3, v9, v3
	s_waitcnt vmcnt(0)
	s_delay_alu instid0(VALU_DEP_2) | instskip(SKIP_1) | instid1(VALU_DEP_3)
	v_add_co_u32 v4, vcc_lo, v4, v2
	v_mov_b32_e32 v2, v7
	v_add_co_ci_u32_e32 v5, vcc_lo, v5, v3, vcc_lo
	v_mov_b32_e32 v3, v8
	global_store_b64 v[4:5], v[7:8], off
	s_waitcnt_vscnt null, 0x0
	global_atomic_cmpswap_b64 v[2:3], v6, v[0:3], s[2:3] offset:24 glc
	s_waitcnt vmcnt(0)
	v_cmp_ne_u64_e32 vcc_lo, v[2:3], v[7:8]
	s_and_b32 exec_lo, exec_lo, vcc_lo
	s_cbranch_execz .LBB3_634
; %bb.632:
	s_mov_b32 s0, 0
.LBB3_633:                              ; =>This Inner Loop Header: Depth=1
	s_sleep 1
	global_store_b64 v[4:5], v[2:3], off
	s_waitcnt_vscnt null, 0x0
	global_atomic_cmpswap_b64 v[7:8], v6, v[0:3], s[2:3] offset:24 glc
	s_waitcnt vmcnt(0)
	v_cmp_eq_u64_e32 vcc_lo, v[7:8], v[2:3]
	v_dual_mov_b32 v2, v7 :: v_dual_mov_b32 v3, v8
	s_or_b32 s0, vcc_lo, s0
	s_delay_alu instid0(SALU_CYCLE_1)
	s_and_not1_b32 exec_lo, exec_lo, s0
	s_cbranch_execnz .LBB3_633
.LBB3_634:
	s_or_b32 exec_lo, exec_lo, s1
.LBB3_635:
	s_getpc_b64 s[0:1]
	s_add_u32 s0, s0, .str.29@rel32@lo+4
	s_addc_u32 s1, s1, .str.29@rel32@hi+12
	s_getpc_b64 s[2:3]
	s_add_u32 s2, s2, .str.19@rel32@lo+4
	s_addc_u32 s3, s3, .str.19@rel32@hi+12
	s_getpc_b64 s[4:5]
	s_add_u32 s4, s4, __PRETTY_FUNCTION__._ZN7VecsMemIjLi8192EE5fetchEi@rel32@lo+4
	s_addc_u32 s5, s5, __PRETTY_FUNCTION__._ZN7VecsMemIjLi8192EE5fetchEi@rel32@hi+12
	s_waitcnt vmcnt(0)
	v_dual_mov_b32 v0, s0 :: v_dual_mov_b32 v1, s1
	v_dual_mov_b32 v2, s2 :: v_dual_mov_b32 v3, s3
	;; [unrolled: 1-line block ×3, first 2 shown]
	v_mov_b32_e32 v6, s5
	s_getpc_b64 s[6:7]
	s_add_u32 s6, s6, __assert_fail@rel32@lo+4
	s_addc_u32 s7, s7, __assert_fail@rel32@hi+12
	s_mov_b64 s[18:19], s[8:9]
	s_swappc_b64 s[30:31], s[6:7]
	s_mov_b64 s[8:9], s[18:19]
	s_or_b32 s0, s20, exec_lo
.LBB3_636:
	s_or_b32 exec_lo, exec_lo, s23
	s_delay_alu instid0(SALU_CYCLE_1)
	s_and_not1_b32 s1, s20, exec_lo
	s_and_b32 s0, s0, exec_lo
	s_and_not1_b32 s2, s17, exec_lo
	s_and_b32 s3, s22, exec_lo
	s_or_b32 s20, s1, s0
	s_or_b32 s17, s2, s3
.LBB3_637:
	s_or_b32 exec_lo, exec_lo, s21
	s_delay_alu instid0(SALU_CYCLE_1)
	s_and_not1_b32 s0, s43, exec_lo
	s_and_b32 s1, s20, exec_lo
	s_and_b32 s2, s17, exec_lo
	s_or_b32 s1, s0, s1
                                        ; implicit-def: $vgpr45_vgpr46
                                        ; implicit-def: $vgpr73
.LBB3_638:
	s_and_not1_saveexec_b32 s3, s52
	s_cbranch_execz .LBB3_643
; %bb.639:
	v_mov_b32_e32 v0, 0
	s_mov_b32 s4, 0
	s_mov_b32 s5, exec_lo
	s_delay_alu instid0(VALU_DEP_1)
	v_mov_b32_e32 v1, v0
	v_mov_b32_e32 v2, v0
	;; [unrolled: 1-line block ×3, first 2 shown]
	flat_store_b128 v[45:46], v[0:3]
	v_cmpx_lt_i32_e32 0, v73
	s_cbranch_execz .LBB3_642
; %bb.640:
	v_dual_mov_b32 v2, v0 :: v_dual_add_nc_u32 v1, -1, v73
	v_add_nc_u32_e32 v3, 1, v73
	s_delay_alu instid0(VALU_DEP_2) | instskip(NEXT) | instid1(VALU_DEP_1)
	v_lshlrev_b64 v[1:2], 2, v[1:2]
	v_add_co_u32 v1, vcc_lo, v41, v1
	s_delay_alu instid0(VALU_DEP_2)
	v_add_co_ci_u32_e32 v2, vcc_lo, v42, v2, vcc_lo
.LBB3_641:                              ; =>This Inner Loop Header: Depth=1
	s_delay_alu instid0(VALU_DEP_4) | instskip(SKIP_2) | instid1(VALU_DEP_1)
	v_add_nc_u32_e32 v3, -1, v3
	flat_store_b32 v[1:2], v0
	v_add_co_u32 v1, s0, v1, -4
	v_add_co_ci_u32_e64 v2, s0, -1, v2, s0
	v_cmp_gt_u32_e32 vcc_lo, 2, v3
	s_or_b32 s4, vcc_lo, s4
	s_delay_alu instid0(SALU_CYCLE_1)
	s_and_not1_b32 exec_lo, exec_lo, s4
	s_cbranch_execnz .LBB3_641
.LBB3_642:
	s_or_b32 exec_lo, exec_lo, s5
	s_delay_alu instid0(SALU_CYCLE_1)
	s_or_b32 s2, s2, exec_lo
.LBB3_643:
	s_or_b32 exec_lo, exec_lo, s3
	s_and_saveexec_b32 s0, s2
	s_delay_alu instid0(SALU_CYCLE_1) | instskip(NEXT) | instid1(SALU_CYCLE_1)
	s_xor_b32 s0, exec_lo, s0
	s_or_b32 exec_lo, exec_lo, s0
	s_delay_alu instid0(SALU_CYCLE_1) | instskip(SKIP_1) | instid1(SALU_CYCLE_1)
	s_and_not1_b32 s0, s43, exec_lo
	s_and_b32 s1, s1, exec_lo
	s_or_b32 s17, s0, s1
.LBB3_644:
	s_and_not1_saveexec_b32 s18, s51
	s_cbranch_execz .LBB3_646
; %bb.645:
	s_getpc_b64 s[0:1]
	s_add_u32 s0, s0, .str.17@rel32@lo+4
	s_addc_u32 s1, s1, .str.17@rel32@hi+12
	s_getpc_b64 s[2:3]
	s_add_u32 s2, s2, .str.16@rel32@lo+4
	s_addc_u32 s3, s3, .str.16@rel32@hi+12
	s_getpc_b64 s[4:5]
	s_add_u32 s4, s4, __PRETTY_FUNCTION__._ZN3sop13minatoIsopRecEPKjS1_iPNS_3SopEP7VecsMemIjLi8192EE@rel32@lo+4
	s_addc_u32 s5, s5, __PRETTY_FUNCTION__._ZN3sop13minatoIsopRecEPKjS1_iPNS_3SopEP7VecsMemIjLi8192EE@rel32@hi+12
	v_dual_mov_b32 v0, s0 :: v_dual_mov_b32 v1, s1
	v_dual_mov_b32 v2, s2 :: v_dual_mov_b32 v3, s3
	;; [unrolled: 1-line block ×3, first 2 shown]
	v_mov_b32_e32 v6, s5
	s_getpc_b64 s[6:7]
	s_add_u32 s6, s6, __assert_fail@rel32@lo+4
	s_addc_u32 s7, s7, __assert_fail@rel32@hi+12
	s_delay_alu instid0(SALU_CYCLE_1)
	s_swappc_b64 s[30:31], s[6:7]
	s_or_b32 s17, s17, exec_lo
                                        ; implicit-def: $vgpr41_vgpr42
.LBB3_646:
	s_or_b32 exec_lo, exec_lo, s18
	s_delay_alu instid0(SALU_CYCLE_1) | instskip(SKIP_1) | instid1(SALU_CYCLE_1)
	s_and_not1_b32 s0, s43, exec_lo
	s_and_b32 s1, s17, exec_lo
	s_or_b32 s43, s0, s1
	s_or_b32 exec_lo, exec_lo, s50
	s_and_saveexec_b32 s0, s43
	s_cbranch_execnz .LBB3_3
	s_branch .LBB3_4
.Lfunc_end3:
	.size	_ZN3sop13minatoIsopRecEPKjS1_iPNS_3SopEP7VecsMemIjLi8192EE, .Lfunc_end3-_ZN3sop13minatoIsopRecEPKjS1_iPNS_3SopEP7VecsMemIjLi8192EE
                                        ; -- End function
	.section	.AMDGPU.csdata,"",@progbits
; Function info:
; codeLenInByte = 25764
; NumSgprs: 62
; NumVgprs: 80
; ScratchSize: 336
; MemoryBound: 0
	.text
	.p2align	2                               ; -- Begin function _ZN3sop23sopFactorTrivialCubeRecEjiiPN8subgUtil4SubgILi256EEE
	.type	_ZN3sop23sopFactorTrivialCubeRecEjiiPN8subgUtil4SubgILi256EEE,@function
_ZN3sop23sopFactorTrivialCubeRecEjiiPN8subgUtil4SubgILi256EEE: ; @_ZN3sop23sopFactorTrivialCubeRecEjiiPN8subgUtil4SubgILi256EEE
; %bb.0:
	s_waitcnt vmcnt(0) expcnt(0) lgkmcnt(0)
	s_mov_b32 s0, s33
	s_mov_b32 s33, s32
	s_or_saveexec_b32 s1, -1
	scratch_store_b32 off, v46, s33 offset:24 ; 4-byte Folded Spill
	s_mov_b32 exec_lo, s1
	v_writelane_b32 v46, s0, 11
	s_add_i32 s32, s32, 32
	s_clause 0x5
	scratch_store_b32 off, v40, s33 offset:20
	; meta instruction
	scratch_store_b32 off, v41, s33 offset:16
	; meta instruction
	;; [unrolled: 2-line block ×5, first 2 shown]
	scratch_store_b32 off, v45, s33
	v_writelane_b32 v46, s34, 0
	v_writelane_b32 v46, s35, 1
	;; [unrolled: 1-line block ×11, first 2 shown]
	v_dual_mov_b32 v41, v4 :: v_dual_mov_b32 v40, v3
	s_mov_b32 s17, 0
                                        ; implicit-def: $vgpr3
	s_mov_b32 s0, exec_lo
	v_cmpx_ne_u32_e32 0, v0
	s_xor_b32 s38, exec_lo, s0
	s_cbranch_execnz .LBB4_5
; %bb.1:
	s_and_not1_saveexec_b32 s18, s38
	s_cbranch_execnz .LBB4_34
.LBB4_2:
	s_or_b32 exec_lo, exec_lo, s18
	s_and_saveexec_b32 s0, s17
.LBB4_3:
	; divergent unreachable
.LBB4_4:
	s_delay_alu instid0(SALU_CYCLE_1)
	s_or_b32 exec_lo, exec_lo, s0
	s_clause 0x5
	scratch_load_b32 v45, off, s33
	scratch_load_b32 v44, off, s33 offset:4
	scratch_load_b32 v43, off, s33 offset:8
	;; [unrolled: 1-line block ×5, first 2 shown]
	v_readlane_b32 s30, v46, 9
	v_mov_b32_e32 v0, v3
	v_readlane_b32 s31, v46, 10
	v_readlane_b32 s43, v46, 8
	;; [unrolled: 1-line block ×11, first 2 shown]
	s_or_saveexec_b32 s1, -1
	scratch_load_b32 v46, off, s33 offset:24 ; 4-byte Folded Reload
	s_mov_b32 exec_lo, s1
	s_addk_i32 s32, 0xffe0
	s_mov_b32 s33, s0
	s_waitcnt vmcnt(0) lgkmcnt(0)
	s_setpc_b64 s[30:31]
.LBB4_5:
	v_cmp_lt_i32_e32 vcc_lo, v1, v2
	v_dual_mov_b32 v4, 0 :: v_dual_mov_b32 v3, -1
	s_and_saveexec_b32 s1, vcc_lo
	s_cbranch_execz .LBB4_9
; %bb.6:
	v_dual_mov_b32 v4, 0 :: v_dual_mov_b32 v3, -1
	v_mov_b32_e32 v5, v1
	s_mov_b32 s2, 0
.LBB4_7:                                ; =>This Inner Loop Header: Depth=1
	s_delay_alu instid0(VALU_DEP_1) | instskip(SKIP_1) | instid1(VALU_DEP_2)
	v_lshrrev_b32_e32 v6, v5, v0
	v_bfe_u32 v7, v0, v5, 1
	v_and_b32_e32 v6, 1, v6
	s_delay_alu instid0(VALU_DEP_2) | instskip(NEXT) | instid1(VALU_DEP_2)
	v_add_nc_u32_e32 v4, v4, v7
	v_cmp_eq_u32_e64 s0, 1, v6
	s_delay_alu instid0(VALU_DEP_1) | instskip(SKIP_1) | instid1(VALU_DEP_1)
	v_cndmask_b32_e64 v3, v3, v5, s0
	v_add_nc_u32_e32 v5, 1, v5
	v_cmp_ge_i32_e64 s0, v5, v2
	s_delay_alu instid0(VALU_DEP_1) | instskip(NEXT) | instid1(SALU_CYCLE_1)
	s_or_b32 s2, s0, s2
	s_and_not1_b32 exec_lo, exec_lo, s2
	s_cbranch_execnz .LBB4_7
; %bb.8:
	s_or_b32 exec_lo, exec_lo, s2
.LBB4_9:
	s_delay_alu instid0(SALU_CYCLE_1)
	s_or_b32 exec_lo, exec_lo, s1
	s_mov_b32 s17, 0
	s_mov_b32 s1, exec_lo
	v_cmpx_ne_u32_e32 -1, v3
	s_xor_b32 s39, exec_lo, s1
	s_cbranch_execz .LBB4_31
; %bb.10:
	s_mov_b32 s1, 0
	s_mov_b32 s40, exec_lo
	v_cmpx_ne_u32_e32 1, v4
	s_cbranch_execz .LBB4_30
; %bb.11:
	v_mov_b32_e32 v43, v1
	s_and_saveexec_b32 s0, vcc_lo
	s_cbranch_execz .LBB4_21
; %bb.12:
	v_lshrrev_b32_e32 v3, 31, v4
	s_delay_alu instid0(VALU_DEP_1) | instskip(SKIP_1) | instid1(VALU_DEP_2)
	v_dual_mov_b32 v5, v1 :: v_dual_add_nc_u32 v4, v4, v3
	v_mov_b32_e32 v3, 0
	v_ashrrev_i32_e32 v4, 1, v4
	s_set_inst_prefetch_distance 0x1
	s_branch .LBB4_14
	.p2align	6
.LBB4_13:                               ;   in Loop: Header=BB4_14 Depth=1
	s_or_b32 exec_lo, exec_lo, s3
	s_delay_alu instid0(SALU_CYCLE_1) | instskip(NEXT) | instid1(SALU_CYCLE_1)
	s_and_b32 s2, exec_lo, s2
	s_or_b32 s1, s2, s1
	s_delay_alu instid0(SALU_CYCLE_1)
	s_and_not1_b32 exec_lo, exec_lo, s1
	s_cbranch_execz .LBB4_20
.LBB4_14:                               ; =>This Inner Loop Header: Depth=1
	v_lshrrev_b32_e32 v6, v5, v0
	s_mov_b32 s2, -1
	s_mov_b32 s4, -1
	s_mov_b32 s3, exec_lo
                                        ; implicit-def: $vgpr43
	s_delay_alu instid0(VALU_DEP_1) | instskip(NEXT) | instid1(VALU_DEP_1)
	v_and_b32_e32 v6, 1, v6
	v_cmpx_eq_u32_e32 1, v6
	s_cbranch_execz .LBB4_18
; %bb.15:                               ;   in Loop: Header=BB4_14 Depth=1
	s_mov_b32 s4, 0
	s_mov_b32 s5, exec_lo
	v_cmpx_ne_u32_e64 v3, v4
; %bb.16:                               ;   in Loop: Header=BB4_14 Depth=1
	v_add_nc_u32_e32 v3, 1, v3
	s_mov_b32 s4, exec_lo
; %bb.17:                               ;   in Loop: Header=BB4_14 Depth=1
	s_or_b32 exec_lo, exec_lo, s5
	v_mov_b32_e32 v43, v5
	s_or_not1_b32 s4, s4, exec_lo
.LBB4_18:                               ;   in Loop: Header=BB4_14 Depth=1
	s_or_b32 exec_lo, exec_lo, s3
	s_and_saveexec_b32 s3, s4
	s_cbranch_execz .LBB4_13
; %bb.19:                               ;   in Loop: Header=BB4_14 Depth=1
	v_add_nc_u32_e32 v5, 1, v5
	v_mov_b32_e32 v43, v2
	s_delay_alu instid0(VALU_DEP_2)
	v_cmp_ge_i32_e32 vcc_lo, v5, v2
	s_or_not1_b32 s2, vcc_lo, exec_lo
	s_branch .LBB4_13
.LBB4_20:
	s_set_inst_prefetch_distance 0x2
	s_or_b32 exec_lo, exec_lo, s1
.LBB4_21:
	s_delay_alu instid0(SALU_CYCLE_1)
	s_or_b32 exec_lo, exec_lo, s0
	v_dual_mov_b32 v44, v2 :: v_dual_mov_b32 v45, v0
	v_dual_mov_b32 v2, v43 :: v_dual_mov_b32 v3, v40
	v_mov_b32_e32 v4, v41
	s_getpc_b64 s[42:43]
	s_add_u32 s42, s42, _ZN3sop23sopFactorTrivialCubeRecEjiiPN8subgUtil4SubgILi256EEE@rel32@lo+4
	s_addc_u32 s43, s43, _ZN3sop23sopFactorTrivialCubeRecEjiiPN8subgUtil4SubgILi256EEE@rel32@hi+12
	s_mov_b64 s[36:37], s[8:9]
	s_swappc_b64 s[30:31], s[42:43]
	v_dual_mov_b32 v42, v0 :: v_dual_mov_b32 v1, v43
	v_dual_mov_b32 v0, v45 :: v_dual_mov_b32 v3, v40
	v_mov_b32_e32 v2, v44
	v_mov_b32_e32 v4, v41
	s_mov_b64 s[8:9], s[36:37]
	s_mov_b64 s[34:35], s[36:37]
	s_swappc_b64 s[30:31], s[42:43]
	flat_load_b32 v1, v[40:41]
	s_mov_b32 s17, 0
	s_mov_b32 s0, exec_lo
	s_waitcnt vmcnt(0) lgkmcnt(0)
	v_cmpx_lt_i32_e32 0xff, v1
	s_xor_b32 s18, exec_lo, s0
	s_cbranch_execz .LBB4_23
; %bb.22:
	s_getpc_b64 s[0:1]
	s_add_u32 s0, s0, .str.43@rel32@lo+4
	s_addc_u32 s1, s1, .str.43@rel32@hi+12
	s_getpc_b64 s[2:3]
	s_add_u32 s2, s2, .str.44@rel32@lo+4
	s_addc_u32 s3, s3, .str.44@rel32@hi+12
	s_getpc_b64 s[4:5]
	s_add_u32 s4, s4, __PRETTY_FUNCTION__._ZN8subgUtil4SubgILi256EE10addNodeAndEii@rel32@lo+4
	s_addc_u32 s5, s5, __PRETTY_FUNCTION__._ZN8subgUtil4SubgILi256EE10addNodeAndEii@rel32@hi+12
	v_dual_mov_b32 v0, s0 :: v_dual_mov_b32 v1, s1
	v_dual_mov_b32 v2, s2 :: v_dual_mov_b32 v3, s3
	;; [unrolled: 1-line block ×3, first 2 shown]
	v_mov_b32_e32 v6, s5
	s_mov_b64 s[8:9], s[34:35]
	s_getpc_b64 s[6:7]
	s_add_u32 s6, s6, __assert_fail@rel32@lo+4
	s_addc_u32 s7, s7, __assert_fail@rel32@hi+12
	s_delay_alu instid0(SALU_CYCLE_1)
	s_swappc_b64 s[30:31], s[6:7]
	s_mov_b32 s17, exec_lo
                                        ; implicit-def: $vgpr0
                                        ; implicit-def: $vgpr42
                                        ; implicit-def: $vgpr1
                                        ; implicit-def: $vgpr40_vgpr41
.LBB4_23:
	s_or_saveexec_b32 s18, s18
	s_mov_b64 s[8:9], s[34:35]
                                        ; implicit-def: $vgpr3
	s_xor_b32 exec_lo, exec_lo, s18
	s_cbranch_execz .LBB4_29
; %bb.24:
	v_or_b32_e32 v2, v0, v42
	s_mov_b32 s0, exec_lo
                                        ; implicit-def: $vgpr3
	s_delay_alu instid0(VALU_DEP_1)
	v_cmpx_lt_i32_e32 -1, v2
	s_xor_b32 s0, exec_lo, s0
; %bb.25:
	v_ashrrev_i32_e32 v2, 31, v1
	v_max_i32_e32 v4, v42, v0
	v_min_i32_e32 v5, v42, v0
	v_add_nc_u32_e32 v0, 1, v1
	s_delay_alu instid0(VALU_DEP_4) | instskip(NEXT) | instid1(VALU_DEP_4)
	v_lshlrev_b64 v[2:3], 3, v[1:2]
	v_lshlrev_b32_e32 v4, 1, v4
	s_delay_alu instid0(VALU_DEP_2) | instskip(NEXT) | instid1(VALU_DEP_3)
	v_add_co_u32 v6, vcc_lo, v40, v2
	v_add_co_ci_u32_e32 v7, vcc_lo, v41, v3, vcc_lo
	v_lshlrev_b32_e32 v3, 1, v1
	s_clause 0x1
	flat_store_b32 v[40:41], v0
	flat_store_b64 v[6:7], v[4:5] offset:8
; %bb.26:
	s_or_saveexec_b32 s19, s0
	s_mov_b32 s0, s17
	s_xor_b32 exec_lo, exec_lo, s19
	s_cbranch_execz .LBB4_28
; %bb.27:
	s_getpc_b64 s[0:1]
	s_add_u32 s0, s0, .str.46@rel32@lo+4
	s_addc_u32 s1, s1, .str.46@rel32@hi+12
	s_getpc_b64 s[2:3]
	s_add_u32 s2, s2, .str.44@rel32@lo+4
	s_addc_u32 s3, s3, .str.44@rel32@hi+12
	s_getpc_b64 s[4:5]
	s_add_u32 s4, s4, __PRETTY_FUNCTION__._ZN8subgUtil18formAndNodeKeyFlagEiii@rel32@lo+4
	s_addc_u32 s5, s5, __PRETTY_FUNCTION__._ZN8subgUtil18formAndNodeKeyFlagEiii@rel32@hi+12
	v_dual_mov_b32 v0, s0 :: v_dual_mov_b32 v1, s1
	v_dual_mov_b32 v2, s2 :: v_dual_mov_b32 v3, s3
	;; [unrolled: 1-line block ×3, first 2 shown]
	v_mov_b32_e32 v6, s5
	s_mov_b64 s[8:9], s[34:35]
	s_getpc_b64 s[6:7]
	s_add_u32 s6, s6, __assert_fail@rel32@lo+4
	s_addc_u32 s7, s7, __assert_fail@rel32@hi+12
	s_delay_alu instid0(SALU_CYCLE_1)
	s_swappc_b64 s[30:31], s[6:7]
	s_mov_b64 s[8:9], s[34:35]
	s_or_b32 s0, s17, exec_lo
                                        ; implicit-def: $vgpr3
.LBB4_28:
	s_or_b32 exec_lo, exec_lo, s19
	s_delay_alu instid0(SALU_CYCLE_1) | instskip(SKIP_1) | instid1(SALU_CYCLE_1)
	s_and_not1_b32 s1, s17, exec_lo
	s_and_b32 s0, s0, exec_lo
	s_or_b32 s17, s1, s0
.LBB4_29:
	s_or_b32 exec_lo, exec_lo, s18
	s_delay_alu instid0(SALU_CYCLE_1)
	s_and_b32 s1, s17, exec_lo
.LBB4_30:
	s_or_b32 exec_lo, exec_lo, s40
	s_delay_alu instid0(SALU_CYCLE_1)
	s_and_b32 s17, s1, exec_lo
.LBB4_31:
	s_and_not1_saveexec_b32 s20, s39
	s_cbranch_execz .LBB4_33
; %bb.32:
	s_getpc_b64 s[0:1]
	s_add_u32 s0, s0, .str.37@rel32@lo+4
	s_addc_u32 s1, s1, .str.37@rel32@hi+12
	s_getpc_b64 s[2:3]
	s_add_u32 s2, s2, .str.31@rel32@lo+4
	s_addc_u32 s3, s3, .str.31@rel32@hi+12
	s_getpc_b64 s[4:5]
	s_add_u32 s4, s4, __PRETTY_FUNCTION__._ZN3sop23sopFactorTrivialCubeRecEjiiPN8subgUtil4SubgILi256EEE@rel32@lo+4
	s_addc_u32 s5, s5, __PRETTY_FUNCTION__._ZN3sop23sopFactorTrivialCubeRecEjiiPN8subgUtil4SubgILi256EEE@rel32@hi+12
	v_dual_mov_b32 v0, s0 :: v_dual_mov_b32 v1, s1
	v_dual_mov_b32 v2, s2 :: v_dual_mov_b32 v3, s3
	v_dual_mov_b32 v4, 0xb7 :: v_dual_mov_b32 v5, s4
	v_mov_b32_e32 v6, s5
	s_getpc_b64 s[6:7]
	s_add_u32 s6, s6, __assert_fail@rel32@lo+4
	s_addc_u32 s7, s7, __assert_fail@rel32@hi+12
	s_mov_b64 s[18:19], s[8:9]
	s_swappc_b64 s[30:31], s[6:7]
	s_mov_b64 s[8:9], s[18:19]
	s_or_b32 s17, s17, exec_lo
                                        ; implicit-def: $vgpr3
.LBB4_33:
	s_or_b32 exec_lo, exec_lo, s20
	s_delay_alu instid0(SALU_CYCLE_1)
	s_and_b32 s17, s17, exec_lo
	s_and_not1_saveexec_b32 s18, s38
	s_cbranch_execz .LBB4_2
.LBB4_34:
	s_getpc_b64 s[0:1]
	s_add_u32 s0, s0, .str.36@rel32@lo+4
	s_addc_u32 s1, s1, .str.36@rel32@hi+12
	s_getpc_b64 s[2:3]
	s_add_u32 s2, s2, .str.31@rel32@lo+4
	s_addc_u32 s3, s3, .str.31@rel32@hi+12
	s_getpc_b64 s[4:5]
	s_add_u32 s4, s4, __PRETTY_FUNCTION__._ZN3sop23sopFactorTrivialCubeRecEjiiPN8subgUtil4SubgILi256EEE@rel32@lo+4
	s_addc_u32 s5, s5, __PRETTY_FUNCTION__._ZN3sop23sopFactorTrivialCubeRecEjiiPN8subgUtil4SubgILi256EEE@rel32@hi+12
	v_dual_mov_b32 v0, s0 :: v_dual_mov_b32 v1, s1
	v_dual_mov_b32 v2, s2 :: v_dual_mov_b32 v3, s3
	v_dual_mov_b32 v4, 0xaf :: v_dual_mov_b32 v5, s4
	v_mov_b32_e32 v6, s5
	s_getpc_b64 s[6:7]
	s_add_u32 s6, s6, __assert_fail@rel32@lo+4
	s_addc_u32 s7, s7, __assert_fail@rel32@hi+12
	s_delay_alu instid0(SALU_CYCLE_1)
	s_swappc_b64 s[30:31], s[6:7]
	s_or_b32 s17, s17, exec_lo
                                        ; implicit-def: $vgpr3
	s_or_b32 exec_lo, exec_lo, s18
	s_and_saveexec_b32 s0, s17
	s_cbranch_execnz .LBB4_3
	s_branch .LBB4_4
.Lfunc_end4:
	.size	_ZN3sop23sopFactorTrivialCubeRecEjiiPN8subgUtil4SubgILi256EEE, .Lfunc_end4-_ZN3sop23sopFactorTrivialCubeRecEjiiPN8subgUtil4SubgILi256EEE
                                        ; -- End function
	.section	.AMDGPU.csdata,"",@progbits
; Function info:
; codeLenInByte = 1604
; NumSgprs: 46
; NumVgprs: 53
; ScratchSize: 96
; MemoryBound: 0
	.text
	.p2align	2                               ; -- Begin function _ZN3sop19sopFactorTrivialRecEPjiiPN8subgUtil4SubgILi256EEE
	.type	_ZN3sop19sopFactorTrivialRecEPjiiPN8subgUtil4SubgILi256EEE,@function
_ZN3sop19sopFactorTrivialRecEPjiiPN8subgUtil4SubgILi256EEE: ; @_ZN3sop19sopFactorTrivialRecEPjiiPN8subgUtil4SubgILi256EEE
; %bb.0:
	s_waitcnt vmcnt(0) expcnt(0) lgkmcnt(0)
	s_mov_b32 s0, s33
	s_mov_b32 s33, s32
	s_or_saveexec_b32 s1, -1
	scratch_store_b32 off, v57, s33 offset:36 ; 4-byte Folded Spill
	s_mov_b32 exec_lo, s1
	v_writelane_b32 v57, s0, 12
	s_add_i32 s32, s32, 48
	s_clause 0x8
	scratch_store_b32 off, v40, s33 offset:32
	; meta instruction
	scratch_store_b32 off, v41, s33 offset:28
	; meta instruction
	;; [unrolled: 2-line block ×8, first 2 shown]
	scratch_store_b32 off, v56, s33
	v_writelane_b32 v57, s34, 0
	v_writelane_b32 v57, s35, 1
	;; [unrolled: 1-line block ×12, first 2 shown]
	v_dual_mov_b32 v41, v5 :: v_dual_mov_b32 v40, v4
	v_dual_mov_b32 v43, v1 :: v_dual_mov_b32 v42, v0
	s_mov_b64 s[34:35], s[8:9]
                                        ; implicit-def: $vgpr1
	s_mov_b32 s0, exec_lo
	v_cmpx_ne_u32_e32 1, v2
	s_xor_b32 s36, exec_lo, s0
	s_cbranch_execz .LBB5_6
; %bb.1:
	v_lshrrev_b32_e32 v0, 31, v2
	v_mov_b32_e32 v4, v40
	s_mov_b64 s[8:9], s[34:35]
	s_getpc_b64 s[38:39]
	s_add_u32 s38, s38, _ZN3sop19sopFactorTrivialRecEPjiiPN8subgUtil4SubgILi256EEE@rel32@lo+4
	s_addc_u32 s39, s39, _ZN3sop19sopFactorTrivialRecEPjiiPN8subgUtil4SubgILi256EEE@rel32@hi+12
	v_mov_b32_e32 v56, v3
	v_dual_mov_b32 v1, v43 :: v_dual_add_nc_u32 v0, v2, v0
	v_mov_b32_e32 v5, v41
	s_delay_alu instid0(VALU_DEP_2) | instskip(SKIP_1) | instid1(VALU_DEP_2)
	v_ashrrev_i32_e32 v45, 1, v0
	v_mov_b32_e32 v0, v42
	v_sub_nc_u32_e32 v47, v2, v45
	v_mov_b32_e32 v2, v45
	s_swappc_b64 s[30:31], s[38:39]
	v_ashrrev_i32_e32 v46, 31, v45
	v_dual_mov_b32 v44, v0 :: v_dual_mov_b32 v5, v41
	v_dual_mov_b32 v2, v47 :: v_dual_mov_b32 v3, v56
	s_delay_alu instid0(VALU_DEP_3) | instskip(SKIP_2) | instid1(VALU_DEP_2)
	v_lshlrev_b64 v[0:1], 2, v[45:46]
	v_mov_b32_e32 v4, v40
	s_mov_b64 s[8:9], s[34:35]
	v_add_co_u32 v0, vcc_lo, v42, v0
	s_delay_alu instid0(VALU_DEP_3)
	v_add_co_ci_u32_e32 v1, vcc_lo, v43, v1, vcc_lo
	s_swappc_b64 s[30:31], s[38:39]
	flat_load_b32 v1, v[40:41]
	s_mov_b32 s17, 0
	s_mov_b32 s0, exec_lo
	s_waitcnt vmcnt(0) lgkmcnt(0)
	v_cmpx_lt_i32_e32 0xff, v1
	s_xor_b32 s18, exec_lo, s0
	s_cbranch_execnz .LBB5_9
; %bb.2:
	s_or_saveexec_b32 s18, s18
                                        ; implicit-def: $vgpr1
	s_delay_alu instid0(SALU_CYCLE_1)
	s_xor_b32 exec_lo, exec_lo, s18
	s_cbranch_execnz .LBB5_10
.LBB5_3:
	s_or_b32 exec_lo, exec_lo, s18
	s_and_saveexec_b32 s0, s17
.LBB5_4:
	; divergent unreachable
.LBB5_5:
	s_delay_alu instid0(SALU_CYCLE_1)
	s_or_b32 exec_lo, exec_lo, s0
                                        ; implicit-def: $vgpr42_vgpr43
                                        ; implicit-def: $vgpr40
                                        ; implicit-def: $vgpr3
.LBB5_6:
	s_and_not1_saveexec_b32 s41, s36
	s_cbranch_execz .LBB5_8
; %bb.7:
	flat_load_b32 v0, v[42:43]
	v_dual_mov_b32 v1, 0 :: v_dual_mov_b32 v2, v3
	v_dual_mov_b32 v3, v40 :: v_dual_mov_b32 v4, v41
	s_mov_b64 s[8:9], s[34:35]
	s_getpc_b64 s[0:1]
	s_add_u32 s0, s0, _ZN3sop23sopFactorTrivialCubeRecEjiiPN8subgUtil4SubgILi256EEE@rel32@lo+4
	s_addc_u32 s1, s1, _ZN3sop23sopFactorTrivialCubeRecEjiiPN8subgUtil4SubgILi256EEE@rel32@hi+12
	s_delay_alu instid0(SALU_CYCLE_1)
	s_swappc_b64 s[30:31], s[0:1]
	v_mov_b32_e32 v1, v0
.LBB5_8:
	s_or_b32 exec_lo, exec_lo, s41
	s_clause 0x8
	scratch_load_b32 v56, off, s33
	scratch_load_b32 v47, off, s33 offset:4
	scratch_load_b32 v46, off, s33 offset:8
	;; [unrolled: 1-line block ×8, first 2 shown]
	v_readlane_b32 s30, v57, 10
	v_mov_b32_e32 v0, v1
	v_readlane_b32 s31, v57, 11
	v_readlane_b32 s43, v57, 9
	;; [unrolled: 1-line block ×12, first 2 shown]
	s_or_saveexec_b32 s1, -1
	scratch_load_b32 v57, off, s33 offset:36 ; 4-byte Folded Reload
	s_mov_b32 exec_lo, s1
	s_addk_i32 s32, 0xffd0
	s_mov_b32 s33, s0
	s_waitcnt vmcnt(0) lgkmcnt(0)
	s_setpc_b64 s[30:31]
.LBB5_9:
	s_getpc_b64 s[0:1]
	s_add_u32 s0, s0, .str.43@rel32@lo+4
	s_addc_u32 s1, s1, .str.43@rel32@hi+12
	s_getpc_b64 s[2:3]
	s_add_u32 s2, s2, .str.44@rel32@lo+4
	s_addc_u32 s3, s3, .str.44@rel32@hi+12
	s_getpc_b64 s[4:5]
	s_add_u32 s4, s4, __PRETTY_FUNCTION__._ZN8subgUtil4SubgILi256EE9addNodeOrEii@rel32@lo+4
	s_addc_u32 s5, s5, __PRETTY_FUNCTION__._ZN8subgUtil4SubgILi256EE9addNodeOrEii@rel32@hi+12
	v_dual_mov_b32 v0, s0 :: v_dual_mov_b32 v1, s1
	v_dual_mov_b32 v2, s2 :: v_dual_mov_b32 v3, s3
	;; [unrolled: 1-line block ×3, first 2 shown]
	v_mov_b32_e32 v6, s5
	s_mov_b64 s[8:9], s[34:35]
	s_getpc_b64 s[6:7]
	s_add_u32 s6, s6, __assert_fail@rel32@lo+4
	s_addc_u32 s7, s7, __assert_fail@rel32@hi+12
	s_delay_alu instid0(SALU_CYCLE_1) | instskip(SKIP_2) | instid1(SALU_CYCLE_1)
	s_swappc_b64 s[30:31], s[6:7]
	s_mov_b32 s17, exec_lo
                                        ; implicit-def: $vgpr0
                                        ; implicit-def: $vgpr44
                                        ; implicit-def: $vgpr40_vgpr41
	s_or_saveexec_b32 s18, s18
                                        ; implicit-def: $vgpr1
	s_xor_b32 exec_lo, exec_lo, s18
	s_cbranch_execz .LBB5_3
.LBB5_10:
	v_min_i32_e32 v37, v44, v0
	v_max_i32_e32 v3, v44, v0
	s_delay_alu instid0(VALU_DEP_2) | instskip(NEXT) | instid1(VALU_DEP_2)
	v_xor_b32_e32 v33, 1, v37
	v_xor_b32_e32 v34, 1, v3
	s_delay_alu instid0(VALU_DEP_1) | instskip(NEXT) | instid1(VALU_DEP_1)
	v_cmp_gt_i32_e64 s0, v33, v34
	s_and_saveexec_b32 s16, s0
	s_cbranch_execz .LBB5_195
; %bb.11:
	s_load_b64 s[4:5], s[34:35], 0x50
	v_mbcnt_lo_u32_b32 v36, -1, 0
	v_mov_b32_e32 v1, 0
	v_mov_b32_e32 v2, 0
	s_delay_alu instid0(VALU_DEP_3) | instskip(NEXT) | instid1(VALU_DEP_1)
	v_readfirstlane_b32 s1, v36
	v_cmp_eq_u32_e64 s1, s1, v36
	s_delay_alu instid0(VALU_DEP_1)
	s_and_saveexec_b32 s2, s1
	s_cbranch_execz .LBB5_17
; %bb.12:
	v_mov_b32_e32 v4, 0
	s_mov_b32 s3, exec_lo
	s_waitcnt lgkmcnt(0)
	global_load_b64 v[7:8], v4, s[4:5] offset:24 glc
	s_waitcnt vmcnt(0)
	buffer_gl1_inv
	buffer_gl0_inv
	s_clause 0x1
	global_load_b64 v[1:2], v4, s[4:5] offset:40
	global_load_b64 v[5:6], v4, s[4:5]
	s_waitcnt vmcnt(1)
	v_and_b32_e32 v1, v1, v7
	v_and_b32_e32 v2, v2, v8
	s_delay_alu instid0(VALU_DEP_2) | instskip(NEXT) | instid1(VALU_DEP_2)
	v_mul_hi_u32 v9, v1, 24
	v_mul_lo_u32 v2, v2, 24
	v_mul_lo_u32 v1, v1, 24
	s_delay_alu instid0(VALU_DEP_2) | instskip(SKIP_1) | instid1(VALU_DEP_2)
	v_add_nc_u32_e32 v2, v9, v2
	s_waitcnt vmcnt(0)
	v_add_co_u32 v1, vcc_lo, v5, v1
	s_delay_alu instid0(VALU_DEP_2)
	v_add_co_ci_u32_e32 v2, vcc_lo, v6, v2, vcc_lo
	global_load_b64 v[5:6], v[1:2], off glc
	s_waitcnt vmcnt(0)
	global_atomic_cmpswap_b64 v[1:2], v4, v[5:8], s[4:5] offset:24 glc
	s_waitcnt vmcnt(0)
	buffer_gl1_inv
	buffer_gl0_inv
	v_cmpx_ne_u64_e64 v[1:2], v[7:8]
	s_cbranch_execz .LBB5_16
; %bb.13:
	s_mov_b32 s6, 0
	.p2align	6
.LBB5_14:                               ; =>This Inner Loop Header: Depth=1
	s_sleep 1
	s_clause 0x1
	global_load_b64 v[5:6], v4, s[4:5] offset:40
	global_load_b64 v[9:10], v4, s[4:5]
	v_dual_mov_b32 v8, v2 :: v_dual_mov_b32 v7, v1
	s_waitcnt vmcnt(1)
	s_delay_alu instid0(VALU_DEP_1) | instskip(SKIP_1) | instid1(VALU_DEP_1)
	v_and_b32_e32 v5, v5, v7
	s_waitcnt vmcnt(0)
	v_mad_u64_u32 v[1:2], null, v5, 24, v[9:10]
	v_and_b32_e32 v9, v6, v8
	s_delay_alu instid0(VALU_DEP_1) | instskip(NEXT) | instid1(VALU_DEP_1)
	v_mad_u64_u32 v[5:6], null, v9, 24, v[2:3]
	v_mov_b32_e32 v2, v5
	global_load_b64 v[5:6], v[1:2], off glc
	s_waitcnt vmcnt(0)
	global_atomic_cmpswap_b64 v[1:2], v4, v[5:8], s[4:5] offset:24 glc
	s_waitcnt vmcnt(0)
	buffer_gl1_inv
	buffer_gl0_inv
	v_cmp_eq_u64_e32 vcc_lo, v[1:2], v[7:8]
	s_or_b32 s6, vcc_lo, s6
	s_delay_alu instid0(SALU_CYCLE_1)
	s_and_not1_b32 exec_lo, exec_lo, s6
	s_cbranch_execnz .LBB5_14
; %bb.15:
	s_or_b32 exec_lo, exec_lo, s6
.LBB5_16:
	s_delay_alu instid0(SALU_CYCLE_1)
	s_or_b32 exec_lo, exec_lo, s3
.LBB5_17:
	s_delay_alu instid0(SALU_CYCLE_1)
	s_or_b32 exec_lo, exec_lo, s2
	v_mov_b32_e32 v9, 0
	v_readfirstlane_b32 s2, v1
	v_readfirstlane_b32 s3, v2
	s_mov_b32 s8, exec_lo
	s_waitcnt lgkmcnt(0)
	s_clause 0x1
	global_load_b64 v[10:11], v9, s[4:5] offset:40
	global_load_b128 v[4:7], v9, s[4:5]
	s_waitcnt vmcnt(1)
	v_readfirstlane_b32 s6, v10
	v_readfirstlane_b32 s7, v11
	s_delay_alu instid0(VALU_DEP_1) | instskip(NEXT) | instid1(SALU_CYCLE_1)
	s_and_b64 s[6:7], s[2:3], s[6:7]
	s_mul_i32 s9, s7, 24
	s_mul_hi_u32 s10, s6, 24
	s_mul_i32 s11, s6, 24
	s_add_i32 s10, s10, s9
	s_waitcnt vmcnt(0)
	v_add_co_u32 v1, vcc_lo, v4, s11
	v_add_co_ci_u32_e32 v2, vcc_lo, s10, v5, vcc_lo
	s_and_saveexec_b32 s9, s1
	s_cbranch_execz .LBB5_19
; %bb.18:
	v_dual_mov_b32 v8, s8 :: v_dual_mov_b32 v11, 1
	v_mov_b32_e32 v10, 2
	global_store_b128 v[1:2], v[8:11], off offset:8
.LBB5_19:
	s_or_b32 exec_lo, exec_lo, s9
	s_lshl_b64 s[6:7], s[6:7], 12
	v_dual_mov_b32 v8, 33 :: v_dual_lshlrev_b32 v35, 6, v36
	v_add_co_u32 v6, vcc_lo, v6, s6
	v_add_co_ci_u32_e32 v7, vcc_lo, s7, v7, vcc_lo
	s_mov_b32 s8, 0
	s_delay_alu instid0(VALU_DEP_2)
	v_add_co_u32 v12, vcc_lo, v6, v35
	s_mov_b32 s11, s8
	s_mov_b32 s9, s8
	;; [unrolled: 1-line block ×3, first 2 shown]
	v_dual_mov_b32 v10, v9 :: v_dual_mov_b32 v17, s11
	v_dual_mov_b32 v11, v9 :: v_dual_mov_b32 v16, s10
	v_readfirstlane_b32 s6, v6
	v_readfirstlane_b32 s7, v7
	v_add_co_ci_u32_e32 v13, vcc_lo, 0, v7, vcc_lo
	v_dual_mov_b32 v15, s9 :: v_dual_mov_b32 v14, s8
	s_clause 0x3
	global_store_b128 v35, v[8:11], s[6:7]
	global_store_b128 v35, v[14:17], s[6:7] offset:16
	global_store_b128 v35, v[14:17], s[6:7] offset:32
	;; [unrolled: 1-line block ×3, first 2 shown]
	s_and_saveexec_b32 s6, s1
	s_cbranch_execz .LBB5_26
; %bb.20:
	v_mov_b32_e32 v10, 0
	s_mov_b32 s7, exec_lo
	s_clause 0x1
	global_load_b64 v[16:17], v10, s[4:5] offset:32 glc
	global_load_b64 v[6:7], v10, s[4:5] offset:40
	v_dual_mov_b32 v15, s3 :: v_dual_mov_b32 v14, s2
	s_waitcnt vmcnt(0)
	v_and_b32_e32 v7, s3, v7
	v_and_b32_e32 v6, s2, v6
	s_delay_alu instid0(VALU_DEP_2) | instskip(NEXT) | instid1(VALU_DEP_2)
	v_mul_lo_u32 v7, v7, 24
	v_mul_hi_u32 v8, v6, 24
	v_mul_lo_u32 v6, v6, 24
	s_delay_alu instid0(VALU_DEP_2) | instskip(NEXT) | instid1(VALU_DEP_2)
	v_add_nc_u32_e32 v7, v8, v7
	v_add_co_u32 v8, vcc_lo, v4, v6
	s_delay_alu instid0(VALU_DEP_2)
	v_add_co_ci_u32_e32 v9, vcc_lo, v5, v7, vcc_lo
	global_store_b64 v[8:9], v[16:17], off
	s_waitcnt_vscnt null, 0x0
	global_atomic_cmpswap_b64 v[6:7], v10, v[14:17], s[4:5] offset:32 glc
	s_waitcnt vmcnt(0)
	v_cmpx_ne_u64_e64 v[6:7], v[16:17]
	s_cbranch_execz .LBB5_22
.LBB5_21:                               ; =>This Inner Loop Header: Depth=1
	v_dual_mov_b32 v4, s2 :: v_dual_mov_b32 v5, s3
	s_sleep 1
	global_store_b64 v[8:9], v[6:7], off
	s_waitcnt_vscnt null, 0x0
	global_atomic_cmpswap_b64 v[4:5], v10, v[4:7], s[4:5] offset:32 glc
	s_waitcnt vmcnt(0)
	v_cmp_eq_u64_e32 vcc_lo, v[4:5], v[6:7]
	v_dual_mov_b32 v7, v5 :: v_dual_mov_b32 v6, v4
	s_or_b32 s8, vcc_lo, s8
	s_delay_alu instid0(SALU_CYCLE_1)
	s_and_not1_b32 exec_lo, exec_lo, s8
	s_cbranch_execnz .LBB5_21
.LBB5_22:
	s_or_b32 exec_lo, exec_lo, s7
	v_mov_b32_e32 v7, 0
	s_mov_b32 s8, exec_lo
	s_mov_b32 s7, exec_lo
	v_mbcnt_lo_u32_b32 v6, s8, 0
	global_load_b64 v[4:5], v7, s[4:5] offset:16
	v_cmpx_eq_u32_e32 0, v6
	s_cbranch_execz .LBB5_24
; %bb.23:
	s_bcnt1_i32_b32 s8, s8
	s_delay_alu instid0(SALU_CYCLE_1)
	v_mov_b32_e32 v6, s8
	s_waitcnt vmcnt(0)
	global_atomic_add_u64 v[4:5], v[6:7], off offset:8
.LBB5_24:
	s_or_b32 exec_lo, exec_lo, s7
	s_waitcnt vmcnt(0)
	global_load_b64 v[6:7], v[4:5], off offset:16
	s_waitcnt vmcnt(0)
	v_cmp_eq_u64_e32 vcc_lo, 0, v[6:7]
	s_cbranch_vccnz .LBB5_26
; %bb.25:
	global_load_b32 v4, v[4:5], off offset:24
	s_waitcnt vmcnt(0)
	v_dual_mov_b32 v5, 0 :: v_dual_and_b32 v8, 0xffffff, v4
	s_waitcnt_vscnt null, 0x0
	global_store_b64 v[6:7], v[4:5], off
	v_readfirstlane_b32 m0, v8
	s_sendmsg sendmsg(MSG_INTERRUPT)
.LBB5_26:
	s_or_b32 exec_lo, exec_lo, s6
	s_branch .LBB5_30
	.p2align	6
.LBB5_27:                               ;   in Loop: Header=BB5_30 Depth=1
	s_or_b32 exec_lo, exec_lo, s6
	s_delay_alu instid0(VALU_DEP_1) | instskip(NEXT) | instid1(VALU_DEP_1)
	v_readfirstlane_b32 s6, v4
	s_cmp_eq_u32 s6, 0
	s_cbranch_scc1 .LBB5_29
; %bb.28:                               ;   in Loop: Header=BB5_30 Depth=1
	s_sleep 1
	s_cbranch_execnz .LBB5_30
	s_branch .LBB5_32
	.p2align	6
.LBB5_29:
	s_branch .LBB5_32
.LBB5_30:                               ; =>This Inner Loop Header: Depth=1
	v_mov_b32_e32 v4, 1
	s_and_saveexec_b32 s6, s1
	s_cbranch_execz .LBB5_27
; %bb.31:                               ;   in Loop: Header=BB5_30 Depth=1
	global_load_b32 v4, v[1:2], off offset:20 glc
	s_waitcnt vmcnt(0)
	buffer_gl1_inv
	buffer_gl0_inv
	v_and_b32_e32 v4, 1, v4
	s_branch .LBB5_27
.LBB5_32:
	global_load_b64 v[4:5], v[12:13], off
	s_and_saveexec_b32 s6, s1
	s_cbranch_execz .LBB5_36
; %bb.33:
	v_mov_b32_e32 v10, 0
	s_clause 0x2
	global_load_b64 v[1:2], v10, s[4:5] offset:40
	global_load_b64 v[11:12], v10, s[4:5] offset:24 glc
	global_load_b64 v[8:9], v10, s[4:5]
	s_waitcnt vmcnt(2)
	v_add_co_u32 v13, vcc_lo, v1, 1
	v_add_co_ci_u32_e32 v14, vcc_lo, 0, v2, vcc_lo
	s_delay_alu instid0(VALU_DEP_2) | instskip(NEXT) | instid1(VALU_DEP_2)
	v_add_co_u32 v6, vcc_lo, v13, s2
	v_add_co_ci_u32_e32 v7, vcc_lo, s3, v14, vcc_lo
	s_delay_alu instid0(VALU_DEP_1) | instskip(SKIP_1) | instid1(VALU_DEP_1)
	v_cmp_eq_u64_e32 vcc_lo, 0, v[6:7]
	v_dual_cndmask_b32 v7, v7, v14 :: v_dual_cndmask_b32 v6, v6, v13
	v_and_b32_e32 v2, v7, v2
	s_delay_alu instid0(VALU_DEP_2) | instskip(NEXT) | instid1(VALU_DEP_2)
	v_and_b32_e32 v1, v6, v1
	v_mul_lo_u32 v2, v2, 24
	s_delay_alu instid0(VALU_DEP_2) | instskip(SKIP_1) | instid1(VALU_DEP_2)
	v_mul_hi_u32 v13, v1, 24
	v_mul_lo_u32 v1, v1, 24
	v_add_nc_u32_e32 v2, v13, v2
	s_waitcnt vmcnt(0)
	s_delay_alu instid0(VALU_DEP_2) | instskip(SKIP_1) | instid1(VALU_DEP_3)
	v_add_co_u32 v1, vcc_lo, v8, v1
	v_mov_b32_e32 v8, v11
	v_add_co_ci_u32_e32 v2, vcc_lo, v9, v2, vcc_lo
	v_mov_b32_e32 v9, v12
	global_store_b64 v[1:2], v[11:12], off
	s_waitcnt_vscnt null, 0x0
	global_atomic_cmpswap_b64 v[8:9], v10, v[6:9], s[4:5] offset:24 glc
	s_waitcnt vmcnt(0)
	v_cmp_ne_u64_e32 vcc_lo, v[8:9], v[11:12]
	s_and_b32 exec_lo, exec_lo, vcc_lo
	s_cbranch_execz .LBB5_36
; %bb.34:
	s_mov_b32 s1, 0
.LBB5_35:                               ; =>This Inner Loop Header: Depth=1
	s_sleep 1
	global_store_b64 v[1:2], v[8:9], off
	s_waitcnt_vscnt null, 0x0
	global_atomic_cmpswap_b64 v[11:12], v10, v[6:9], s[4:5] offset:24 glc
	s_waitcnt vmcnt(0)
	v_cmp_eq_u64_e32 vcc_lo, v[11:12], v[8:9]
	v_dual_mov_b32 v8, v11 :: v_dual_mov_b32 v9, v12
	s_or_b32 s1, vcc_lo, s1
	s_delay_alu instid0(SALU_CYCLE_1)
	s_and_not1_b32 exec_lo, exec_lo, s1
	s_cbranch_execnz .LBB5_35
.LBB5_36:
	s_or_b32 exec_lo, exec_lo, s6
	s_getpc_b64 s[6:7]
	s_add_u32 s6, s6, .str.45@rel32@lo+4
	s_addc_u32 s7, s7, .str.45@rel32@hi+12
	s_delay_alu instid0(SALU_CYCLE_1)
	s_cmp_lg_u64 s[6:7], 0
	s_cbranch_scc0 .LBB5_115
; %bb.37:
	s_waitcnt vmcnt(0)
	v_dual_mov_b32 v7, v5 :: v_dual_and_b32 v38, 2, v4
	v_dual_mov_b32 v10, 0 :: v_dual_mov_b32 v11, 2
	v_and_b32_e32 v6, -3, v4
	v_mov_b32_e32 v12, 1
	s_mov_b64 s[8:9], 7
	s_branch .LBB5_39
.LBB5_38:                               ;   in Loop: Header=BB5_39 Depth=1
	s_or_b32 exec_lo, exec_lo, s2
	s_sub_u32 s8, s8, s10
	s_subb_u32 s9, s9, s11
	s_add_u32 s6, s6, s10
	s_addc_u32 s7, s7, s11
	s_cmp_lg_u64 s[8:9], 0
	s_cbranch_scc0 .LBB5_114
.LBB5_39:                               ; =>This Loop Header: Depth=1
                                        ;     Child Loop BB5_48 Depth 2
                                        ;     Child Loop BB5_44 Depth 2
	;; [unrolled: 1-line block ×11, first 2 shown]
	v_cmp_lt_u64_e64 s1, s[8:9], 56
	v_cmp_gt_u64_e64 s2, s[8:9], 7
                                        ; implicit-def: $vgpr15_vgpr16
	s_delay_alu instid0(VALU_DEP_2) | instskip(SKIP_2) | instid1(VALU_DEP_1)
	s_and_b32 s1, s1, exec_lo
	s_cselect_b32 s11, s9, 0
	s_cselect_b32 s10, s8, 56
	s_and_b32 vcc_lo, exec_lo, s2
	s_mov_b32 s2, -1
                                        ; implicit-def: $sgpr1
	s_cbranch_vccz .LBB5_46
; %bb.40:                               ;   in Loop: Header=BB5_39 Depth=1
	s_and_not1_b32 vcc_lo, exec_lo, s2
	s_mov_b64 s[2:3], s[6:7]
	s_cbranch_vccz .LBB5_50
.LBB5_41:                               ;   in Loop: Header=BB5_39 Depth=1
	s_cmp_gt_u32 s1, 7
	s_cbranch_scc1 .LBB5_51
.LBB5_42:                               ;   in Loop: Header=BB5_39 Depth=1
	v_mov_b32_e32 v17, 0
	v_mov_b32_e32 v18, 0
	s_cmp_eq_u32 s1, 0
	s_cbranch_scc1 .LBB5_45
; %bb.43:                               ;   in Loop: Header=BB5_39 Depth=1
	s_mov_b64 s[12:13], 0
	s_mov_b64 s[14:15], 0
.LBB5_44:                               ;   Parent Loop BB5_39 Depth=1
                                        ; =>  This Inner Loop Header: Depth=2
	s_delay_alu instid0(SALU_CYCLE_1)
	s_add_u32 s20, s2, s14
	s_addc_u32 s21, s3, s15
	s_add_u32 s14, s14, 1
	global_load_u8 v1, v10, s[20:21]
	s_addc_u32 s15, s15, 0
	s_waitcnt vmcnt(0)
	v_and_b32_e32 v9, 0xffff, v1
	s_delay_alu instid0(VALU_DEP_1) | instskip(SKIP_3) | instid1(VALU_DEP_1)
	v_lshlrev_b64 v[1:2], s12, v[9:10]
	s_add_u32 s12, s12, 8
	s_addc_u32 s13, s13, 0
	s_cmp_lg_u32 s1, s14
	v_or_b32_e32 v17, v1, v17
	s_delay_alu instid0(VALU_DEP_2)
	v_or_b32_e32 v18, v2, v18
	s_cbranch_scc1 .LBB5_44
.LBB5_45:                               ;   in Loop: Header=BB5_39 Depth=1
	s_mov_b32 s19, 0
	s_cbranch_execz .LBB5_52
	s_branch .LBB5_53
.LBB5_46:                               ;   in Loop: Header=BB5_39 Depth=1
	v_mov_b32_e32 v15, 0
	v_mov_b32_e32 v16, 0
	s_cmp_eq_u64 s[8:9], 0
	s_mov_b64 s[2:3], 0
	s_cbranch_scc1 .LBB5_49
; %bb.47:                               ;   in Loop: Header=BB5_39 Depth=1
	v_mov_b32_e32 v15, 0
	v_mov_b32_e32 v16, 0
	s_lshl_b64 s[12:13], s[10:11], 3
	s_mov_b64 s[14:15], s[6:7]
.LBB5_48:                               ;   Parent Loop BB5_39 Depth=1
                                        ; =>  This Inner Loop Header: Depth=2
	global_load_u8 v1, v10, s[14:15]
	s_waitcnt vmcnt(0)
	v_and_b32_e32 v9, 0xffff, v1
	s_delay_alu instid0(VALU_DEP_1)
	v_lshlrev_b64 v[1:2], s2, v[9:10]
	s_add_u32 s2, s2, 8
	s_addc_u32 s3, s3, 0
	s_add_u32 s14, s14, 1
	s_addc_u32 s15, s15, 0
	s_cmp_lg_u32 s12, s2
	v_or_b32_e32 v15, v1, v15
	v_or_b32_e32 v16, v2, v16
	s_cbranch_scc1 .LBB5_48
.LBB5_49:                               ;   in Loop: Header=BB5_39 Depth=1
	s_mov_b32 s1, 0
	s_mov_b64 s[2:3], s[6:7]
	s_cbranch_execnz .LBB5_41
.LBB5_50:                               ;   in Loop: Header=BB5_39 Depth=1
	global_load_b64 v[15:16], v10, s[6:7]
	s_add_i32 s1, s10, -8
	s_add_u32 s2, s6, 8
	s_addc_u32 s3, s7, 0
	s_cmp_gt_u32 s1, 7
	s_cbranch_scc0 .LBB5_42
.LBB5_51:                               ;   in Loop: Header=BB5_39 Depth=1
                                        ; implicit-def: $vgpr17_vgpr18
                                        ; implicit-def: $sgpr19
.LBB5_52:                               ;   in Loop: Header=BB5_39 Depth=1
	global_load_b64 v[17:18], v10, s[2:3]
	s_add_i32 s19, s1, -8
	s_add_u32 s2, s2, 8
	s_addc_u32 s3, s3, 0
.LBB5_53:                               ;   in Loop: Header=BB5_39 Depth=1
	s_cmp_gt_u32 s19, 7
	s_cbranch_scc1 .LBB5_58
; %bb.54:                               ;   in Loop: Header=BB5_39 Depth=1
	v_mov_b32_e32 v19, 0
	v_mov_b32_e32 v20, 0
	s_cmp_eq_u32 s19, 0
	s_cbranch_scc1 .LBB5_57
; %bb.55:                               ;   in Loop: Header=BB5_39 Depth=1
	s_mov_b64 s[12:13], 0
	s_mov_b64 s[14:15], 0
.LBB5_56:                               ;   Parent Loop BB5_39 Depth=1
                                        ; =>  This Inner Loop Header: Depth=2
	s_delay_alu instid0(SALU_CYCLE_1)
	s_add_u32 s20, s2, s14
	s_addc_u32 s21, s3, s15
	s_add_u32 s14, s14, 1
	global_load_u8 v1, v10, s[20:21]
	s_addc_u32 s15, s15, 0
	s_waitcnt vmcnt(0)
	v_and_b32_e32 v9, 0xffff, v1
	s_delay_alu instid0(VALU_DEP_1) | instskip(SKIP_3) | instid1(VALU_DEP_1)
	v_lshlrev_b64 v[1:2], s12, v[9:10]
	s_add_u32 s12, s12, 8
	s_addc_u32 s13, s13, 0
	s_cmp_lg_u32 s19, s14
	v_or_b32_e32 v19, v1, v19
	s_delay_alu instid0(VALU_DEP_2)
	v_or_b32_e32 v20, v2, v20
	s_cbranch_scc1 .LBB5_56
.LBB5_57:                               ;   in Loop: Header=BB5_39 Depth=1
	s_mov_b32 s1, 0
	s_cbranch_execz .LBB5_59
	s_branch .LBB5_60
.LBB5_58:                               ;   in Loop: Header=BB5_39 Depth=1
                                        ; implicit-def: $sgpr1
.LBB5_59:                               ;   in Loop: Header=BB5_39 Depth=1
	global_load_b64 v[19:20], v10, s[2:3]
	s_add_i32 s1, s19, -8
	s_add_u32 s2, s2, 8
	s_addc_u32 s3, s3, 0
.LBB5_60:                               ;   in Loop: Header=BB5_39 Depth=1
	s_cmp_gt_u32 s1, 7
	s_cbranch_scc1 .LBB5_65
; %bb.61:                               ;   in Loop: Header=BB5_39 Depth=1
	v_mov_b32_e32 v21, 0
	v_mov_b32_e32 v22, 0
	s_cmp_eq_u32 s1, 0
	s_cbranch_scc1 .LBB5_64
; %bb.62:                               ;   in Loop: Header=BB5_39 Depth=1
	s_mov_b64 s[12:13], 0
	s_mov_b64 s[14:15], 0
.LBB5_63:                               ;   Parent Loop BB5_39 Depth=1
                                        ; =>  This Inner Loop Header: Depth=2
	s_delay_alu instid0(SALU_CYCLE_1)
	s_add_u32 s20, s2, s14
	s_addc_u32 s21, s3, s15
	s_add_u32 s14, s14, 1
	global_load_u8 v1, v10, s[20:21]
	s_addc_u32 s15, s15, 0
	s_waitcnt vmcnt(0)
	v_and_b32_e32 v9, 0xffff, v1
	s_delay_alu instid0(VALU_DEP_1) | instskip(SKIP_3) | instid1(VALU_DEP_1)
	v_lshlrev_b64 v[1:2], s12, v[9:10]
	s_add_u32 s12, s12, 8
	s_addc_u32 s13, s13, 0
	s_cmp_lg_u32 s1, s14
	v_or_b32_e32 v21, v1, v21
	s_delay_alu instid0(VALU_DEP_2)
	v_or_b32_e32 v22, v2, v22
	s_cbranch_scc1 .LBB5_63
.LBB5_64:                               ;   in Loop: Header=BB5_39 Depth=1
	s_mov_b32 s19, 0
	s_cbranch_execz .LBB5_66
	s_branch .LBB5_67
.LBB5_65:                               ;   in Loop: Header=BB5_39 Depth=1
                                        ; implicit-def: $vgpr21_vgpr22
                                        ; implicit-def: $sgpr19
.LBB5_66:                               ;   in Loop: Header=BB5_39 Depth=1
	global_load_b64 v[21:22], v10, s[2:3]
	s_add_i32 s19, s1, -8
	s_add_u32 s2, s2, 8
	s_addc_u32 s3, s3, 0
.LBB5_67:                               ;   in Loop: Header=BB5_39 Depth=1
	s_cmp_gt_u32 s19, 7
	s_cbranch_scc1 .LBB5_72
; %bb.68:                               ;   in Loop: Header=BB5_39 Depth=1
	v_mov_b32_e32 v23, 0
	v_mov_b32_e32 v24, 0
	s_cmp_eq_u32 s19, 0
	s_cbranch_scc1 .LBB5_71
; %bb.69:                               ;   in Loop: Header=BB5_39 Depth=1
	s_mov_b64 s[12:13], 0
	s_mov_b64 s[14:15], 0
.LBB5_70:                               ;   Parent Loop BB5_39 Depth=1
                                        ; =>  This Inner Loop Header: Depth=2
	s_delay_alu instid0(SALU_CYCLE_1)
	s_add_u32 s20, s2, s14
	s_addc_u32 s21, s3, s15
	s_add_u32 s14, s14, 1
	global_load_u8 v1, v10, s[20:21]
	s_addc_u32 s15, s15, 0
	s_waitcnt vmcnt(0)
	v_and_b32_e32 v9, 0xffff, v1
	s_delay_alu instid0(VALU_DEP_1) | instskip(SKIP_3) | instid1(VALU_DEP_1)
	v_lshlrev_b64 v[1:2], s12, v[9:10]
	s_add_u32 s12, s12, 8
	s_addc_u32 s13, s13, 0
	s_cmp_lg_u32 s19, s14
	v_or_b32_e32 v23, v1, v23
	s_delay_alu instid0(VALU_DEP_2)
	v_or_b32_e32 v24, v2, v24
	s_cbranch_scc1 .LBB5_70
.LBB5_71:                               ;   in Loop: Header=BB5_39 Depth=1
	s_mov_b32 s1, 0
	s_cbranch_execz .LBB5_73
	s_branch .LBB5_74
.LBB5_72:                               ;   in Loop: Header=BB5_39 Depth=1
                                        ; implicit-def: $sgpr1
.LBB5_73:                               ;   in Loop: Header=BB5_39 Depth=1
	global_load_b64 v[23:24], v10, s[2:3]
	s_add_i32 s1, s19, -8
	s_add_u32 s2, s2, 8
	s_addc_u32 s3, s3, 0
.LBB5_74:                               ;   in Loop: Header=BB5_39 Depth=1
	s_cmp_gt_u32 s1, 7
	s_cbranch_scc1 .LBB5_79
; %bb.75:                               ;   in Loop: Header=BB5_39 Depth=1
	v_mov_b32_e32 v25, 0
	v_mov_b32_e32 v26, 0
	s_cmp_eq_u32 s1, 0
	s_cbranch_scc1 .LBB5_78
; %bb.76:                               ;   in Loop: Header=BB5_39 Depth=1
	s_mov_b64 s[12:13], 0
	s_mov_b64 s[14:15], 0
.LBB5_77:                               ;   Parent Loop BB5_39 Depth=1
                                        ; =>  This Inner Loop Header: Depth=2
	s_delay_alu instid0(SALU_CYCLE_1)
	s_add_u32 s20, s2, s14
	s_addc_u32 s21, s3, s15
	s_add_u32 s14, s14, 1
	global_load_u8 v1, v10, s[20:21]
	s_addc_u32 s15, s15, 0
	s_waitcnt vmcnt(0)
	v_and_b32_e32 v9, 0xffff, v1
	s_delay_alu instid0(VALU_DEP_1) | instskip(SKIP_3) | instid1(VALU_DEP_1)
	v_lshlrev_b64 v[1:2], s12, v[9:10]
	s_add_u32 s12, s12, 8
	s_addc_u32 s13, s13, 0
	s_cmp_lg_u32 s1, s14
	v_or_b32_e32 v25, v1, v25
	s_delay_alu instid0(VALU_DEP_2)
	v_or_b32_e32 v26, v2, v26
	s_cbranch_scc1 .LBB5_77
.LBB5_78:                               ;   in Loop: Header=BB5_39 Depth=1
	s_mov_b32 s19, 0
	s_cbranch_execz .LBB5_80
	s_branch .LBB5_81
.LBB5_79:                               ;   in Loop: Header=BB5_39 Depth=1
                                        ; implicit-def: $vgpr25_vgpr26
                                        ; implicit-def: $sgpr19
.LBB5_80:                               ;   in Loop: Header=BB5_39 Depth=1
	global_load_b64 v[25:26], v10, s[2:3]
	s_add_i32 s19, s1, -8
	s_add_u32 s2, s2, 8
	s_addc_u32 s3, s3, 0
.LBB5_81:                               ;   in Loop: Header=BB5_39 Depth=1
	s_cmp_gt_u32 s19, 7
	s_cbranch_scc1 .LBB5_86
; %bb.82:                               ;   in Loop: Header=BB5_39 Depth=1
	v_mov_b32_e32 v27, 0
	v_mov_b32_e32 v28, 0
	s_cmp_eq_u32 s19, 0
	s_cbranch_scc1 .LBB5_85
; %bb.83:                               ;   in Loop: Header=BB5_39 Depth=1
	s_mov_b64 s[12:13], 0
	s_mov_b64 s[14:15], s[2:3]
.LBB5_84:                               ;   Parent Loop BB5_39 Depth=1
                                        ; =>  This Inner Loop Header: Depth=2
	global_load_u8 v1, v10, s[14:15]
	s_add_i32 s19, s19, -1
	s_waitcnt vmcnt(0)
	v_and_b32_e32 v9, 0xffff, v1
	s_delay_alu instid0(VALU_DEP_1)
	v_lshlrev_b64 v[1:2], s12, v[9:10]
	s_add_u32 s12, s12, 8
	s_addc_u32 s13, s13, 0
	s_add_u32 s14, s14, 1
	s_addc_u32 s15, s15, 0
	s_cmp_lg_u32 s19, 0
	v_or_b32_e32 v27, v1, v27
	v_or_b32_e32 v28, v2, v28
	s_cbranch_scc1 .LBB5_84
.LBB5_85:                               ;   in Loop: Header=BB5_39 Depth=1
	s_cbranch_execz .LBB5_87
	s_branch .LBB5_88
.LBB5_86:                               ;   in Loop: Header=BB5_39 Depth=1
.LBB5_87:                               ;   in Loop: Header=BB5_39 Depth=1
	global_load_b64 v[27:28], v10, s[2:3]
.LBB5_88:                               ;   in Loop: Header=BB5_39 Depth=1
	v_readfirstlane_b32 s1, v36
	v_mov_b32_e32 v1, 0
	v_mov_b32_e32 v2, 0
	s_delay_alu instid0(VALU_DEP_3) | instskip(NEXT) | instid1(VALU_DEP_1)
	v_cmp_eq_u32_e64 s1, s1, v36
	s_and_saveexec_b32 s2, s1
	s_cbranch_execz .LBB5_94
; %bb.89:                               ;   in Loop: Header=BB5_39 Depth=1
	global_load_b64 v[31:32], v10, s[4:5] offset:24 glc
	s_waitcnt vmcnt(0)
	buffer_gl1_inv
	buffer_gl0_inv
	s_clause 0x1
	global_load_b64 v[1:2], v10, s[4:5] offset:40
	global_load_b64 v[8:9], v10, s[4:5]
	s_mov_b32 s3, exec_lo
	s_waitcnt vmcnt(1)
	v_and_b32_e32 v2, v2, v32
	v_and_b32_e32 v1, v1, v31
	s_delay_alu instid0(VALU_DEP_2) | instskip(NEXT) | instid1(VALU_DEP_2)
	v_mul_lo_u32 v2, v2, 24
	v_mul_hi_u32 v13, v1, 24
	v_mul_lo_u32 v1, v1, 24
	s_delay_alu instid0(VALU_DEP_2) | instskip(SKIP_1) | instid1(VALU_DEP_2)
	v_add_nc_u32_e32 v2, v13, v2
	s_waitcnt vmcnt(0)
	v_add_co_u32 v1, vcc_lo, v8, v1
	s_delay_alu instid0(VALU_DEP_2)
	v_add_co_ci_u32_e32 v2, vcc_lo, v9, v2, vcc_lo
	global_load_b64 v[29:30], v[1:2], off glc
	s_waitcnt vmcnt(0)
	global_atomic_cmpswap_b64 v[1:2], v10, v[29:32], s[4:5] offset:24 glc
	s_waitcnt vmcnt(0)
	buffer_gl1_inv
	buffer_gl0_inv
	v_cmpx_ne_u64_e64 v[1:2], v[31:32]
	s_cbranch_execz .LBB5_93
; %bb.90:                               ;   in Loop: Header=BB5_39 Depth=1
	s_mov_b32 s12, 0
	.p2align	6
.LBB5_91:                               ;   Parent Loop BB5_39 Depth=1
                                        ; =>  This Inner Loop Header: Depth=2
	s_sleep 1
	s_clause 0x1
	global_load_b64 v[8:9], v10, s[4:5] offset:40
	global_load_b64 v[13:14], v10, s[4:5]
	v_dual_mov_b32 v32, v2 :: v_dual_mov_b32 v31, v1
	s_waitcnt vmcnt(1)
	s_delay_alu instid0(VALU_DEP_1) | instskip(SKIP_1) | instid1(VALU_DEP_1)
	v_and_b32_e32 v8, v8, v31
	s_waitcnt vmcnt(0)
	v_mad_u64_u32 v[1:2], null, v8, 24, v[13:14]
	v_and_b32_e32 v13, v9, v32
	s_delay_alu instid0(VALU_DEP_1) | instskip(NEXT) | instid1(VALU_DEP_1)
	v_mad_u64_u32 v[8:9], null, v13, 24, v[2:3]
	v_mov_b32_e32 v2, v8
	global_load_b64 v[29:30], v[1:2], off glc
	s_waitcnt vmcnt(0)
	global_atomic_cmpswap_b64 v[1:2], v10, v[29:32], s[4:5] offset:24 glc
	s_waitcnt vmcnt(0)
	buffer_gl1_inv
	buffer_gl0_inv
	v_cmp_eq_u64_e32 vcc_lo, v[1:2], v[31:32]
	s_or_b32 s12, vcc_lo, s12
	s_delay_alu instid0(SALU_CYCLE_1)
	s_and_not1_b32 exec_lo, exec_lo, s12
	s_cbranch_execnz .LBB5_91
; %bb.92:                               ;   in Loop: Header=BB5_39 Depth=1
	s_or_b32 exec_lo, exec_lo, s12
.LBB5_93:                               ;   in Loop: Header=BB5_39 Depth=1
	s_delay_alu instid0(SALU_CYCLE_1)
	s_or_b32 exec_lo, exec_lo, s3
.LBB5_94:                               ;   in Loop: Header=BB5_39 Depth=1
	s_delay_alu instid0(SALU_CYCLE_1)
	s_or_b32 exec_lo, exec_lo, s2
	s_clause 0x1
	global_load_b64 v[8:9], v10, s[4:5] offset:40
	global_load_b128 v[29:32], v10, s[4:5]
	v_readfirstlane_b32 s12, v1
	v_readfirstlane_b32 s13, v2
	s_mov_b32 s14, exec_lo
	s_waitcnt vmcnt(1)
	v_readfirstlane_b32 s2, v8
	v_readfirstlane_b32 s3, v9
	s_delay_alu instid0(VALU_DEP_1) | instskip(NEXT) | instid1(SALU_CYCLE_1)
	s_and_b64 s[2:3], s[12:13], s[2:3]
	s_mul_i32 s15, s3, 24
	s_mul_hi_u32 s19, s2, 24
	s_mul_i32 s20, s2, 24
	s_add_i32 s19, s19, s15
	s_waitcnt vmcnt(0)
	v_add_co_u32 v1, vcc_lo, v29, s20
	v_add_co_ci_u32_e32 v2, vcc_lo, s19, v30, vcc_lo
	s_and_saveexec_b32 s15, s1
	s_cbranch_execz .LBB5_96
; %bb.95:                               ;   in Loop: Header=BB5_39 Depth=1
	v_mov_b32_e32 v9, s14
	global_store_b128 v[1:2], v[9:12], off offset:8
.LBB5_96:                               ;   in Loop: Header=BB5_39 Depth=1
	s_or_b32 exec_lo, exec_lo, s15
	s_lshl_b64 s[2:3], s[2:3], 12
	v_cmp_gt_u64_e64 vcc_lo, s[8:9], 56
	v_or_b32_e32 v9, v6, v38
	v_add_co_u32 v31, s2, v31, s2
	s_delay_alu instid0(VALU_DEP_1)
	v_add_co_ci_u32_e64 v32, s2, s3, v32, s2
	s_lshl_b32 s2, s10, 2
	v_or_b32_e32 v8, 0, v7
	v_cndmask_b32_e32 v6, v9, v6, vcc_lo
	s_add_i32 s2, s2, 28
	v_readfirstlane_b32 s3, v32
	s_and_b32 s14, s2, 0x1e0
	v_cndmask_b32_e32 v14, v8, v7, vcc_lo
	v_readfirstlane_b32 s2, v31
	v_and_or_b32 v13, 0xffffff1f, v6, s14
	s_clause 0x3
	global_store_b128 v35, v[13:16], s[2:3]
	global_store_b128 v35, v[17:20], s[2:3] offset:16
	global_store_b128 v35, v[21:24], s[2:3] offset:32
	;; [unrolled: 1-line block ×3, first 2 shown]
	s_and_saveexec_b32 s2, s1
	s_cbranch_execz .LBB5_104
; %bb.97:                               ;   in Loop: Header=BB5_39 Depth=1
	s_clause 0x1
	global_load_b64 v[17:18], v10, s[4:5] offset:32 glc
	global_load_b64 v[6:7], v10, s[4:5] offset:40
	v_dual_mov_b32 v15, s12 :: v_dual_mov_b32 v16, s13
	s_waitcnt vmcnt(0)
	v_readfirstlane_b32 s14, v6
	v_readfirstlane_b32 s15, v7
	s_delay_alu instid0(VALU_DEP_1) | instskip(NEXT) | instid1(SALU_CYCLE_1)
	s_and_b64 s[14:15], s[14:15], s[12:13]
	s_mul_i32 s3, s15, 24
	s_mul_hi_u32 s15, s14, 24
	s_mul_i32 s14, s14, 24
	s_add_i32 s15, s15, s3
	v_add_co_u32 v13, vcc_lo, v29, s14
	v_add_co_ci_u32_e32 v14, vcc_lo, s15, v30, vcc_lo
	s_mov_b32 s3, exec_lo
	global_store_b64 v[13:14], v[17:18], off
	s_waitcnt_vscnt null, 0x0
	global_atomic_cmpswap_b64 v[8:9], v10, v[15:18], s[4:5] offset:32 glc
	s_waitcnt vmcnt(0)
	v_cmpx_ne_u64_e64 v[8:9], v[17:18]
	s_cbranch_execz .LBB5_100
; %bb.98:                               ;   in Loop: Header=BB5_39 Depth=1
	s_mov_b32 s14, 0
.LBB5_99:                               ;   Parent Loop BB5_39 Depth=1
                                        ; =>  This Inner Loop Header: Depth=2
	v_dual_mov_b32 v6, s12 :: v_dual_mov_b32 v7, s13
	s_sleep 1
	global_store_b64 v[13:14], v[8:9], off
	s_waitcnt_vscnt null, 0x0
	global_atomic_cmpswap_b64 v[6:7], v10, v[6:9], s[4:5] offset:32 glc
	s_waitcnt vmcnt(0)
	v_cmp_eq_u64_e32 vcc_lo, v[6:7], v[8:9]
	v_dual_mov_b32 v9, v7 :: v_dual_mov_b32 v8, v6
	s_or_b32 s14, vcc_lo, s14
	s_delay_alu instid0(SALU_CYCLE_1)
	s_and_not1_b32 exec_lo, exec_lo, s14
	s_cbranch_execnz .LBB5_99
.LBB5_100:                              ;   in Loop: Header=BB5_39 Depth=1
	s_or_b32 exec_lo, exec_lo, s3
	global_load_b64 v[6:7], v10, s[4:5] offset:16
	s_mov_b32 s14, exec_lo
	s_mov_b32 s3, exec_lo
	v_mbcnt_lo_u32_b32 v8, s14, 0
	s_delay_alu instid0(VALU_DEP_1)
	v_cmpx_eq_u32_e32 0, v8
	s_cbranch_execz .LBB5_102
; %bb.101:                              ;   in Loop: Header=BB5_39 Depth=1
	s_bcnt1_i32_b32 s14, s14
	s_delay_alu instid0(SALU_CYCLE_1)
	v_mov_b32_e32 v9, s14
	s_waitcnt vmcnt(0)
	global_atomic_add_u64 v[6:7], v[9:10], off offset:8
.LBB5_102:                              ;   in Loop: Header=BB5_39 Depth=1
	s_or_b32 exec_lo, exec_lo, s3
	s_waitcnt vmcnt(0)
	global_load_b64 v[13:14], v[6:7], off offset:16
	s_waitcnt vmcnt(0)
	v_cmp_eq_u64_e32 vcc_lo, 0, v[13:14]
	s_cbranch_vccnz .LBB5_104
; %bb.103:                              ;   in Loop: Header=BB5_39 Depth=1
	global_load_b32 v9, v[6:7], off offset:24
	s_waitcnt vmcnt(0)
	v_and_b32_e32 v6, 0xffffff, v9
	s_waitcnt_vscnt null, 0x0
	global_store_b64 v[13:14], v[9:10], off
	v_readfirstlane_b32 m0, v6
	s_sendmsg sendmsg(MSG_INTERRUPT)
.LBB5_104:                              ;   in Loop: Header=BB5_39 Depth=1
	s_or_b32 exec_lo, exec_lo, s2
	v_add_co_u32 v6, vcc_lo, v31, v35
	v_add_co_ci_u32_e32 v7, vcc_lo, 0, v32, vcc_lo
	s_branch .LBB5_108
	.p2align	6
.LBB5_105:                              ;   in Loop: Header=BB5_108 Depth=2
	s_or_b32 exec_lo, exec_lo, s2
	s_delay_alu instid0(VALU_DEP_1) | instskip(NEXT) | instid1(VALU_DEP_1)
	v_readfirstlane_b32 s2, v8
	s_cmp_eq_u32 s2, 0
	s_cbranch_scc1 .LBB5_107
; %bb.106:                              ;   in Loop: Header=BB5_108 Depth=2
	s_sleep 1
	s_cbranch_execnz .LBB5_108
	s_branch .LBB5_110
	.p2align	6
.LBB5_107:                              ;   in Loop: Header=BB5_39 Depth=1
	s_branch .LBB5_110
.LBB5_108:                              ;   Parent Loop BB5_39 Depth=1
                                        ; =>  This Inner Loop Header: Depth=2
	v_mov_b32_e32 v8, 1
	s_and_saveexec_b32 s2, s1
	s_cbranch_execz .LBB5_105
; %bb.109:                              ;   in Loop: Header=BB5_108 Depth=2
	global_load_b32 v8, v[1:2], off offset:20 glc
	s_waitcnt vmcnt(0)
	buffer_gl1_inv
	buffer_gl0_inv
	v_and_b32_e32 v8, 1, v8
	s_branch .LBB5_105
.LBB5_110:                              ;   in Loop: Header=BB5_39 Depth=1
	global_load_b128 v[6:9], v[6:7], off
	s_and_saveexec_b32 s2, s1
	s_cbranch_execz .LBB5_38
; %bb.111:                              ;   in Loop: Header=BB5_39 Depth=1
	s_clause 0x2
	global_load_b64 v[1:2], v10, s[4:5] offset:40
	global_load_b64 v[8:9], v10, s[4:5] offset:24 glc
	global_load_b64 v[15:16], v10, s[4:5]
	s_waitcnt vmcnt(2)
	v_add_co_u32 v17, vcc_lo, v1, 1
	v_add_co_ci_u32_e32 v18, vcc_lo, 0, v2, vcc_lo
	s_delay_alu instid0(VALU_DEP_2) | instskip(NEXT) | instid1(VALU_DEP_2)
	v_add_co_u32 v13, vcc_lo, v17, s12
	v_add_co_ci_u32_e32 v14, vcc_lo, s13, v18, vcc_lo
	s_delay_alu instid0(VALU_DEP_1) | instskip(SKIP_1) | instid1(VALU_DEP_1)
	v_cmp_eq_u64_e32 vcc_lo, 0, v[13:14]
	v_dual_cndmask_b32 v14, v14, v18 :: v_dual_cndmask_b32 v13, v13, v17
	v_and_b32_e32 v2, v14, v2
	s_delay_alu instid0(VALU_DEP_2) | instskip(NEXT) | instid1(VALU_DEP_1)
	v_and_b32_e32 v1, v13, v1
	v_mul_hi_u32 v17, v1, 24
	v_mul_lo_u32 v1, v1, 24
	s_waitcnt vmcnt(0)
	s_delay_alu instid0(VALU_DEP_1) | instskip(SKIP_2) | instid1(VALU_DEP_1)
	v_add_co_u32 v1, vcc_lo, v15, v1
	v_mov_b32_e32 v15, v8
	v_mul_lo_u32 v2, v2, 24
	v_add_nc_u32_e32 v2, v17, v2
	s_delay_alu instid0(VALU_DEP_1)
	v_add_co_ci_u32_e32 v2, vcc_lo, v16, v2, vcc_lo
	v_mov_b32_e32 v16, v9
	global_store_b64 v[1:2], v[8:9], off
	s_waitcnt_vscnt null, 0x0
	global_atomic_cmpswap_b64 v[15:16], v10, v[13:16], s[4:5] offset:24 glc
	s_waitcnt vmcnt(0)
	v_cmp_ne_u64_e32 vcc_lo, v[15:16], v[8:9]
	s_and_b32 exec_lo, exec_lo, vcc_lo
	s_cbranch_execz .LBB5_38
; %bb.112:                              ;   in Loop: Header=BB5_39 Depth=1
	s_mov_b32 s1, 0
.LBB5_113:                              ;   Parent Loop BB5_39 Depth=1
                                        ; =>  This Inner Loop Header: Depth=2
	s_sleep 1
	global_store_b64 v[1:2], v[15:16], off
	s_waitcnt_vscnt null, 0x0
	global_atomic_cmpswap_b64 v[8:9], v10, v[13:16], s[4:5] offset:24 glc
	s_waitcnt vmcnt(0)
	v_cmp_eq_u64_e32 vcc_lo, v[8:9], v[15:16]
	v_dual_mov_b32 v16, v9 :: v_dual_mov_b32 v15, v8
	s_or_b32 s1, vcc_lo, s1
	s_delay_alu instid0(SALU_CYCLE_1)
	s_and_not1_b32 exec_lo, exec_lo, s1
	s_cbranch_execnz .LBB5_113
	s_branch .LBB5_38
.LBB5_114:
	s_branch .LBB5_143
.LBB5_115:
                                        ; implicit-def: $vgpr6_vgpr7
	s_cbranch_execz .LBB5_143
; %bb.116:
	v_readfirstlane_b32 s1, v36
	v_mov_b32_e32 v1, 0
	v_mov_b32_e32 v2, 0
	s_delay_alu instid0(VALU_DEP_3) | instskip(NEXT) | instid1(VALU_DEP_1)
	v_cmp_eq_u32_e64 s1, s1, v36
	s_and_saveexec_b32 s2, s1
	s_cbranch_execz .LBB5_122
; %bb.117:
	s_waitcnt vmcnt(0)
	v_mov_b32_e32 v6, 0
	s_mov_b32 s3, exec_lo
	global_load_b64 v[9:10], v6, s[4:5] offset:24 glc
	s_waitcnt vmcnt(0)
	buffer_gl1_inv
	buffer_gl0_inv
	s_clause 0x1
	global_load_b64 v[1:2], v6, s[4:5] offset:40
	global_load_b64 v[7:8], v6, s[4:5]
	s_waitcnt vmcnt(1)
	v_and_b32_e32 v1, v1, v9
	v_and_b32_e32 v2, v2, v10
	s_delay_alu instid0(VALU_DEP_2) | instskip(NEXT) | instid1(VALU_DEP_2)
	v_mul_hi_u32 v11, v1, 24
	v_mul_lo_u32 v2, v2, 24
	v_mul_lo_u32 v1, v1, 24
	s_delay_alu instid0(VALU_DEP_2) | instskip(SKIP_1) | instid1(VALU_DEP_2)
	v_add_nc_u32_e32 v2, v11, v2
	s_waitcnt vmcnt(0)
	v_add_co_u32 v1, vcc_lo, v7, v1
	s_delay_alu instid0(VALU_DEP_2)
	v_add_co_ci_u32_e32 v2, vcc_lo, v8, v2, vcc_lo
	global_load_b64 v[7:8], v[1:2], off glc
	s_waitcnt vmcnt(0)
	global_atomic_cmpswap_b64 v[1:2], v6, v[7:10], s[4:5] offset:24 glc
	s_waitcnt vmcnt(0)
	buffer_gl1_inv
	buffer_gl0_inv
	v_cmpx_ne_u64_e64 v[1:2], v[9:10]
	s_cbranch_execz .LBB5_121
; %bb.118:
	s_mov_b32 s6, 0
	.p2align	6
.LBB5_119:                              ; =>This Inner Loop Header: Depth=1
	s_sleep 1
	s_clause 0x1
	global_load_b64 v[7:8], v6, s[4:5] offset:40
	global_load_b64 v[11:12], v6, s[4:5]
	v_dual_mov_b32 v10, v2 :: v_dual_mov_b32 v9, v1
	s_waitcnt vmcnt(1)
	s_delay_alu instid0(VALU_DEP_1) | instskip(SKIP_1) | instid1(VALU_DEP_1)
	v_and_b32_e32 v7, v7, v9
	s_waitcnt vmcnt(0)
	v_mad_u64_u32 v[1:2], null, v7, 24, v[11:12]
	v_and_b32_e32 v11, v8, v10
	s_delay_alu instid0(VALU_DEP_1) | instskip(NEXT) | instid1(VALU_DEP_1)
	v_mad_u64_u32 v[7:8], null, v11, 24, v[2:3]
	v_mov_b32_e32 v2, v7
	global_load_b64 v[7:8], v[1:2], off glc
	s_waitcnt vmcnt(0)
	global_atomic_cmpswap_b64 v[1:2], v6, v[7:10], s[4:5] offset:24 glc
	s_waitcnt vmcnt(0)
	buffer_gl1_inv
	buffer_gl0_inv
	v_cmp_eq_u64_e32 vcc_lo, v[1:2], v[9:10]
	s_or_b32 s6, vcc_lo, s6
	s_delay_alu instid0(SALU_CYCLE_1)
	s_and_not1_b32 exec_lo, exec_lo, s6
	s_cbranch_execnz .LBB5_119
; %bb.120:
	s_or_b32 exec_lo, exec_lo, s6
.LBB5_121:
	s_delay_alu instid0(SALU_CYCLE_1)
	s_or_b32 exec_lo, exec_lo, s3
.LBB5_122:
	s_delay_alu instid0(SALU_CYCLE_1)
	s_or_b32 exec_lo, exec_lo, s2
	s_waitcnt vmcnt(0)
	v_mov_b32_e32 v6, 0
	v_readfirstlane_b32 s2, v1
	v_readfirstlane_b32 s3, v2
	s_mov_b32 s8, exec_lo
	s_clause 0x1
	global_load_b64 v[12:13], v6, s[4:5] offset:40
	global_load_b128 v[8:11], v6, s[4:5]
	s_waitcnt vmcnt(1)
	v_readfirstlane_b32 s6, v12
	v_readfirstlane_b32 s7, v13
	s_delay_alu instid0(VALU_DEP_1) | instskip(NEXT) | instid1(SALU_CYCLE_1)
	s_and_b64 s[6:7], s[2:3], s[6:7]
	s_mul_i32 s9, s7, 24
	s_mul_hi_u32 s10, s6, 24
	s_mul_i32 s11, s6, 24
	s_add_i32 s10, s10, s9
	s_waitcnt vmcnt(0)
	v_add_co_u32 v1, vcc_lo, v8, s11
	v_add_co_ci_u32_e32 v2, vcc_lo, s10, v9, vcc_lo
	s_and_saveexec_b32 s9, s1
	s_cbranch_execz .LBB5_124
; %bb.123:
	v_dual_mov_b32 v12, s8 :: v_dual_mov_b32 v13, v6
	v_dual_mov_b32 v14, 2 :: v_dual_mov_b32 v15, 1
	global_store_b128 v[1:2], v[12:15], off offset:8
.LBB5_124:
	s_or_b32 exec_lo, exec_lo, s9
	s_lshl_b64 s[6:7], s[6:7], 12
	s_mov_b32 s8, 0
	v_add_co_u32 v10, vcc_lo, v10, s6
	v_add_co_ci_u32_e32 v11, vcc_lo, s7, v11, vcc_lo
	s_mov_b32 s11, s8
	s_delay_alu instid0(VALU_DEP_2)
	v_readfirstlane_b32 s6, v10
	v_add_co_u32 v10, vcc_lo, v10, v35
	s_mov_b32 s9, s8
	s_mov_b32 s10, s8
	v_and_or_b32 v4, 0xffffff1f, v4, 32
	v_mov_b32_e32 v7, v6
	v_readfirstlane_b32 s7, v11
	v_dual_mov_b32 v15, s11 :: v_dual_mov_b32 v12, s8
	v_add_co_ci_u32_e32 v11, vcc_lo, 0, v11, vcc_lo
	v_dual_mov_b32 v14, s10 :: v_dual_mov_b32 v13, s9
	s_clause 0x3
	global_store_b128 v35, v[4:7], s[6:7]
	global_store_b128 v35, v[12:15], s[6:7] offset:16
	global_store_b128 v35, v[12:15], s[6:7] offset:32
	;; [unrolled: 1-line block ×3, first 2 shown]
	s_and_saveexec_b32 s6, s1
	s_cbranch_execz .LBB5_132
; %bb.125:
	v_dual_mov_b32 v12, 0 :: v_dual_mov_b32 v13, s2
	v_mov_b32_e32 v14, s3
	s_clause 0x1
	global_load_b64 v[15:16], v12, s[4:5] offset:32 glc
	global_load_b64 v[4:5], v12, s[4:5] offset:40
	s_waitcnt vmcnt(0)
	v_readfirstlane_b32 s8, v4
	v_readfirstlane_b32 s9, v5
	s_delay_alu instid0(VALU_DEP_1) | instskip(NEXT) | instid1(SALU_CYCLE_1)
	s_and_b64 s[8:9], s[8:9], s[2:3]
	s_mul_i32 s7, s9, 24
	s_mul_hi_u32 s9, s8, 24
	s_mul_i32 s8, s8, 24
	s_add_i32 s9, s9, s7
	v_add_co_u32 v8, vcc_lo, v8, s8
	v_add_co_ci_u32_e32 v9, vcc_lo, s9, v9, vcc_lo
	s_mov_b32 s7, exec_lo
	global_store_b64 v[8:9], v[15:16], off
	s_waitcnt_vscnt null, 0x0
	global_atomic_cmpswap_b64 v[6:7], v12, v[13:16], s[4:5] offset:32 glc
	s_waitcnt vmcnt(0)
	v_cmpx_ne_u64_e64 v[6:7], v[15:16]
	s_cbranch_execz .LBB5_128
; %bb.126:
	s_mov_b32 s8, 0
.LBB5_127:                              ; =>This Inner Loop Header: Depth=1
	v_dual_mov_b32 v4, s2 :: v_dual_mov_b32 v5, s3
	s_sleep 1
	global_store_b64 v[8:9], v[6:7], off
	s_waitcnt_vscnt null, 0x0
	global_atomic_cmpswap_b64 v[4:5], v12, v[4:7], s[4:5] offset:32 glc
	s_waitcnt vmcnt(0)
	v_cmp_eq_u64_e32 vcc_lo, v[4:5], v[6:7]
	v_dual_mov_b32 v7, v5 :: v_dual_mov_b32 v6, v4
	s_or_b32 s8, vcc_lo, s8
	s_delay_alu instid0(SALU_CYCLE_1)
	s_and_not1_b32 exec_lo, exec_lo, s8
	s_cbranch_execnz .LBB5_127
.LBB5_128:
	s_or_b32 exec_lo, exec_lo, s7
	v_mov_b32_e32 v7, 0
	s_mov_b32 s8, exec_lo
	s_mov_b32 s7, exec_lo
	v_mbcnt_lo_u32_b32 v6, s8, 0
	global_load_b64 v[4:5], v7, s[4:5] offset:16
	v_cmpx_eq_u32_e32 0, v6
	s_cbranch_execz .LBB5_130
; %bb.129:
	s_bcnt1_i32_b32 s8, s8
	s_delay_alu instid0(SALU_CYCLE_1)
	v_mov_b32_e32 v6, s8
	s_waitcnt vmcnt(0)
	global_atomic_add_u64 v[4:5], v[6:7], off offset:8
.LBB5_130:
	s_or_b32 exec_lo, exec_lo, s7
	s_waitcnt vmcnt(0)
	global_load_b64 v[6:7], v[4:5], off offset:16
	s_waitcnt vmcnt(0)
	v_cmp_eq_u64_e32 vcc_lo, 0, v[6:7]
	s_cbranch_vccnz .LBB5_132
; %bb.131:
	global_load_b32 v4, v[4:5], off offset:24
	s_waitcnt vmcnt(0)
	v_dual_mov_b32 v5, 0 :: v_dual_and_b32 v8, 0xffffff, v4
	s_waitcnt_vscnt null, 0x0
	global_store_b64 v[6:7], v[4:5], off
	v_readfirstlane_b32 m0, v8
	s_sendmsg sendmsg(MSG_INTERRUPT)
.LBB5_132:
	s_or_b32 exec_lo, exec_lo, s6
	s_branch .LBB5_136
	.p2align	6
.LBB5_133:                              ;   in Loop: Header=BB5_136 Depth=1
	s_or_b32 exec_lo, exec_lo, s6
	s_delay_alu instid0(VALU_DEP_1) | instskip(NEXT) | instid1(VALU_DEP_1)
	v_readfirstlane_b32 s6, v4
	s_cmp_eq_u32 s6, 0
	s_cbranch_scc1 .LBB5_135
; %bb.134:                              ;   in Loop: Header=BB5_136 Depth=1
	s_sleep 1
	s_cbranch_execnz .LBB5_136
	s_branch .LBB5_138
	.p2align	6
.LBB5_135:
	s_branch .LBB5_138
.LBB5_136:                              ; =>This Inner Loop Header: Depth=1
	v_mov_b32_e32 v4, 1
	s_and_saveexec_b32 s6, s1
	s_cbranch_execz .LBB5_133
; %bb.137:                              ;   in Loop: Header=BB5_136 Depth=1
	global_load_b32 v4, v[1:2], off offset:20 glc
	s_waitcnt vmcnt(0)
	buffer_gl1_inv
	buffer_gl0_inv
	v_and_b32_e32 v4, 1, v4
	s_branch .LBB5_133
.LBB5_138:
	global_load_b64 v[6:7], v[10:11], off
	s_and_saveexec_b32 s6, s1
	s_cbranch_execz .LBB5_142
; %bb.139:
	v_mov_b32_e32 v4, 0
	s_clause 0x2
	global_load_b64 v[1:2], v4, s[4:5] offset:40
	global_load_b64 v[12:13], v4, s[4:5] offset:24 glc
	global_load_b64 v[10:11], v4, s[4:5]
	s_waitcnt vmcnt(2)
	v_add_co_u32 v5, vcc_lo, v1, 1
	v_add_co_ci_u32_e32 v14, vcc_lo, 0, v2, vcc_lo
	s_delay_alu instid0(VALU_DEP_2) | instskip(NEXT) | instid1(VALU_DEP_2)
	v_add_co_u32 v8, vcc_lo, v5, s2
	v_add_co_ci_u32_e32 v9, vcc_lo, s3, v14, vcc_lo
	s_delay_alu instid0(VALU_DEP_1) | instskip(SKIP_1) | instid1(VALU_DEP_1)
	v_cmp_eq_u64_e32 vcc_lo, 0, v[8:9]
	v_dual_cndmask_b32 v9, v9, v14 :: v_dual_cndmask_b32 v8, v8, v5
	v_and_b32_e32 v2, v9, v2
	s_delay_alu instid0(VALU_DEP_2) | instskip(NEXT) | instid1(VALU_DEP_2)
	v_and_b32_e32 v1, v8, v1
	v_mul_lo_u32 v2, v2, 24
	s_delay_alu instid0(VALU_DEP_2) | instskip(SKIP_1) | instid1(VALU_DEP_2)
	v_mul_hi_u32 v5, v1, 24
	v_mul_lo_u32 v1, v1, 24
	v_add_nc_u32_e32 v2, v5, v2
	s_waitcnt vmcnt(0)
	s_delay_alu instid0(VALU_DEP_2) | instskip(SKIP_1) | instid1(VALU_DEP_3)
	v_add_co_u32 v1, vcc_lo, v10, v1
	v_mov_b32_e32 v10, v12
	v_add_co_ci_u32_e32 v2, vcc_lo, v11, v2, vcc_lo
	v_mov_b32_e32 v11, v13
	global_store_b64 v[1:2], v[12:13], off
	s_waitcnt_vscnt null, 0x0
	global_atomic_cmpswap_b64 v[10:11], v4, v[8:11], s[4:5] offset:24 glc
	s_waitcnt vmcnt(0)
	v_cmp_ne_u64_e32 vcc_lo, v[10:11], v[12:13]
	s_and_b32 exec_lo, exec_lo, vcc_lo
	s_cbranch_execz .LBB5_142
; %bb.140:
	s_mov_b32 s1, 0
.LBB5_141:                              ; =>This Inner Loop Header: Depth=1
	s_sleep 1
	global_store_b64 v[1:2], v[10:11], off
	s_waitcnt_vscnt null, 0x0
	global_atomic_cmpswap_b64 v[12:13], v4, v[8:11], s[4:5] offset:24 glc
	s_waitcnt vmcnt(0)
	v_cmp_eq_u64_e32 vcc_lo, v[12:13], v[10:11]
	v_dual_mov_b32 v10, v12 :: v_dual_mov_b32 v11, v13
	s_or_b32 s1, vcc_lo, s1
	s_delay_alu instid0(SALU_CYCLE_1)
	s_and_not1_b32 exec_lo, exec_lo, s1
	s_cbranch_execnz .LBB5_141
.LBB5_142:
	s_or_b32 exec_lo, exec_lo, s6
.LBB5_143:
	v_readfirstlane_b32 s1, v36
	v_mov_b32_e32 v1, 0
	v_mov_b32_e32 v2, 0
	s_delay_alu instid0(VALU_DEP_3) | instskip(NEXT) | instid1(VALU_DEP_1)
	v_cmp_eq_u32_e64 s1, s1, v36
	s_and_saveexec_b32 s2, s1
	s_cbranch_execz .LBB5_149
; %bb.144:
	s_waitcnt vmcnt(0)
	v_mov_b32_e32 v4, 0
	s_mov_b32 s3, exec_lo
	global_load_b64 v[10:11], v4, s[4:5] offset:24 glc
	s_waitcnt vmcnt(0)
	buffer_gl1_inv
	buffer_gl0_inv
	s_clause 0x1
	global_load_b64 v[1:2], v4, s[4:5] offset:40
	global_load_b64 v[8:9], v4, s[4:5]
	s_waitcnt vmcnt(1)
	v_and_b32_e32 v1, v1, v10
	v_and_b32_e32 v2, v2, v11
	s_delay_alu instid0(VALU_DEP_2) | instskip(NEXT) | instid1(VALU_DEP_2)
	v_mul_hi_u32 v5, v1, 24
	v_mul_lo_u32 v2, v2, 24
	v_mul_lo_u32 v1, v1, 24
	s_delay_alu instid0(VALU_DEP_2) | instskip(SKIP_1) | instid1(VALU_DEP_2)
	v_add_nc_u32_e32 v2, v5, v2
	s_waitcnt vmcnt(0)
	v_add_co_u32 v1, vcc_lo, v8, v1
	s_delay_alu instid0(VALU_DEP_2)
	v_add_co_ci_u32_e32 v2, vcc_lo, v9, v2, vcc_lo
	global_load_b64 v[8:9], v[1:2], off glc
	s_waitcnt vmcnt(0)
	global_atomic_cmpswap_b64 v[1:2], v4, v[8:11], s[4:5] offset:24 glc
	s_waitcnt vmcnt(0)
	buffer_gl1_inv
	buffer_gl0_inv
	v_cmpx_ne_u64_e64 v[1:2], v[10:11]
	s_cbranch_execz .LBB5_148
; %bb.145:
	s_mov_b32 s6, 0
	.p2align	6
.LBB5_146:                              ; =>This Inner Loop Header: Depth=1
	s_sleep 1
	s_clause 0x1
	global_load_b64 v[8:9], v4, s[4:5] offset:40
	global_load_b64 v[12:13], v4, s[4:5]
	v_dual_mov_b32 v11, v2 :: v_dual_mov_b32 v10, v1
	s_waitcnt vmcnt(1)
	s_delay_alu instid0(VALU_DEP_1) | instskip(SKIP_1) | instid1(VALU_DEP_1)
	v_and_b32_e32 v5, v8, v10
	s_waitcnt vmcnt(0)
	v_mad_u64_u32 v[1:2], null, v5, 24, v[12:13]
	v_and_b32_e32 v5, v9, v11
	s_delay_alu instid0(VALU_DEP_1) | instskip(NEXT) | instid1(VALU_DEP_1)
	v_mad_u64_u32 v[8:9], null, v5, 24, v[2:3]
	v_mov_b32_e32 v2, v8
	global_load_b64 v[8:9], v[1:2], off glc
	s_waitcnt vmcnt(0)
	global_atomic_cmpswap_b64 v[1:2], v4, v[8:11], s[4:5] offset:24 glc
	s_waitcnt vmcnt(0)
	buffer_gl1_inv
	buffer_gl0_inv
	v_cmp_eq_u64_e32 vcc_lo, v[1:2], v[10:11]
	s_or_b32 s6, vcc_lo, s6
	s_delay_alu instid0(SALU_CYCLE_1)
	s_and_not1_b32 exec_lo, exec_lo, s6
	s_cbranch_execnz .LBB5_146
; %bb.147:
	s_or_b32 exec_lo, exec_lo, s6
.LBB5_148:
	s_delay_alu instid0(SALU_CYCLE_1)
	s_or_b32 exec_lo, exec_lo, s3
.LBB5_149:
	s_delay_alu instid0(SALU_CYCLE_1)
	s_or_b32 exec_lo, exec_lo, s2
	s_waitcnt vmcnt(0)
	v_mov_b32_e32 v9, 0
	v_readfirstlane_b32 s2, v1
	v_readfirstlane_b32 s3, v2
	s_mov_b32 s8, exec_lo
	s_clause 0x1
	global_load_b64 v[4:5], v9, s[4:5] offset:40
	global_load_b128 v[10:13], v9, s[4:5]
	s_waitcnt vmcnt(1)
	v_readfirstlane_b32 s6, v4
	v_readfirstlane_b32 s7, v5
	s_delay_alu instid0(VALU_DEP_1) | instskip(NEXT) | instid1(SALU_CYCLE_1)
	s_and_b64 s[6:7], s[2:3], s[6:7]
	s_mul_i32 s9, s7, 24
	s_mul_hi_u32 s10, s6, 24
	s_mul_i32 s11, s6, 24
	s_add_i32 s10, s10, s9
	s_waitcnt vmcnt(0)
	v_add_co_u32 v1, vcc_lo, v10, s11
	v_add_co_ci_u32_e32 v2, vcc_lo, s10, v11, vcc_lo
	s_and_saveexec_b32 s9, s1
	s_cbranch_execz .LBB5_151
; %bb.150:
	v_dual_mov_b32 v8, s8 :: v_dual_mov_b32 v17, 1
	v_dual_mov_b32 v16, 2 :: v_dual_mov_b32 v15, v9
	s_delay_alu instid0(VALU_DEP_2)
	v_mov_b32_e32 v14, v8
	global_store_b128 v[1:2], v[14:17], off offset:8
.LBB5_151:
	s_or_b32 exec_lo, exec_lo, s9
	s_lshl_b64 s[6:7], s[6:7], 12
	s_mov_b32 s8, 0
	v_add_co_u32 v4, vcc_lo, v12, s6
	v_add_co_ci_u32_e32 v5, vcc_lo, s7, v13, vcc_lo
	s_mov_b32 s11, s8
	s_delay_alu instid0(VALU_DEP_2)
	v_add_co_u32 v12, vcc_lo, v4, v35
	s_mov_b32 s9, s8
	s_mov_b32 s10, s8
	v_and_or_b32 v6, 0xffffff1f, v6, 32
	v_dual_mov_b32 v8, v37 :: v_dual_mov_b32 v17, s11
	v_readfirstlane_b32 s6, v4
	v_readfirstlane_b32 s7, v5
	v_add_co_ci_u32_e32 v13, vcc_lo, 0, v5, vcc_lo
	v_dual_mov_b32 v16, s10 :: v_dual_mov_b32 v15, s9
	v_mov_b32_e32 v14, s8
	s_clause 0x3
	global_store_b128 v35, v[6:9], s[6:7]
	global_store_b128 v35, v[14:17], s[6:7] offset:16
	global_store_b128 v35, v[14:17], s[6:7] offset:32
	;; [unrolled: 1-line block ×3, first 2 shown]
	s_and_saveexec_b32 s6, s1
	s_cbranch_execz .LBB5_159
; %bb.152:
	v_dual_mov_b32 v14, 0 :: v_dual_mov_b32 v15, s2
	v_mov_b32_e32 v16, s3
	s_clause 0x1
	global_load_b64 v[17:18], v14, s[4:5] offset:32 glc
	global_load_b64 v[4:5], v14, s[4:5] offset:40
	s_waitcnt vmcnt(0)
	v_readfirstlane_b32 s8, v4
	v_readfirstlane_b32 s9, v5
	s_delay_alu instid0(VALU_DEP_1) | instskip(NEXT) | instid1(SALU_CYCLE_1)
	s_and_b64 s[8:9], s[8:9], s[2:3]
	s_mul_i32 s7, s9, 24
	s_mul_hi_u32 s9, s8, 24
	s_mul_i32 s8, s8, 24
	s_add_i32 s9, s9, s7
	v_add_co_u32 v8, vcc_lo, v10, s8
	v_add_co_ci_u32_e32 v9, vcc_lo, s9, v11, vcc_lo
	s_mov_b32 s7, exec_lo
	global_store_b64 v[8:9], v[17:18], off
	s_waitcnt_vscnt null, 0x0
	global_atomic_cmpswap_b64 v[6:7], v14, v[15:18], s[4:5] offset:32 glc
	s_waitcnt vmcnt(0)
	v_cmpx_ne_u64_e64 v[6:7], v[17:18]
	s_cbranch_execz .LBB5_155
; %bb.153:
	s_mov_b32 s8, 0
.LBB5_154:                              ; =>This Inner Loop Header: Depth=1
	v_dual_mov_b32 v4, s2 :: v_dual_mov_b32 v5, s3
	s_sleep 1
	global_store_b64 v[8:9], v[6:7], off
	s_waitcnt_vscnt null, 0x0
	global_atomic_cmpswap_b64 v[4:5], v14, v[4:7], s[4:5] offset:32 glc
	s_waitcnt vmcnt(0)
	v_cmp_eq_u64_e32 vcc_lo, v[4:5], v[6:7]
	v_dual_mov_b32 v7, v5 :: v_dual_mov_b32 v6, v4
	s_or_b32 s8, vcc_lo, s8
	s_delay_alu instid0(SALU_CYCLE_1)
	s_and_not1_b32 exec_lo, exec_lo, s8
	s_cbranch_execnz .LBB5_154
.LBB5_155:
	s_or_b32 exec_lo, exec_lo, s7
	v_mov_b32_e32 v7, 0
	s_mov_b32 s8, exec_lo
	s_mov_b32 s7, exec_lo
	v_mbcnt_lo_u32_b32 v6, s8, 0
	global_load_b64 v[4:5], v7, s[4:5] offset:16
	v_cmpx_eq_u32_e32 0, v6
	s_cbranch_execz .LBB5_157
; %bb.156:
	s_bcnt1_i32_b32 s8, s8
	s_delay_alu instid0(SALU_CYCLE_1)
	v_mov_b32_e32 v6, s8
	s_waitcnt vmcnt(0)
	global_atomic_add_u64 v[4:5], v[6:7], off offset:8
.LBB5_157:
	s_or_b32 exec_lo, exec_lo, s7
	s_waitcnt vmcnt(0)
	global_load_b64 v[6:7], v[4:5], off offset:16
	s_waitcnt vmcnt(0)
	v_cmp_eq_u64_e32 vcc_lo, 0, v[6:7]
	s_cbranch_vccnz .LBB5_159
; %bb.158:
	global_load_b32 v4, v[4:5], off offset:24
	s_waitcnt vmcnt(0)
	v_dual_mov_b32 v5, 0 :: v_dual_and_b32 v8, 0xffffff, v4
	s_waitcnt_vscnt null, 0x0
	global_store_b64 v[6:7], v[4:5], off
	v_readfirstlane_b32 m0, v8
	s_sendmsg sendmsg(MSG_INTERRUPT)
.LBB5_159:
	s_or_b32 exec_lo, exec_lo, s6
	s_branch .LBB5_163
	.p2align	6
.LBB5_160:                              ;   in Loop: Header=BB5_163 Depth=1
	s_or_b32 exec_lo, exec_lo, s6
	s_delay_alu instid0(VALU_DEP_1) | instskip(NEXT) | instid1(VALU_DEP_1)
	v_readfirstlane_b32 s6, v4
	s_cmp_eq_u32 s6, 0
	s_cbranch_scc1 .LBB5_162
; %bb.161:                              ;   in Loop: Header=BB5_163 Depth=1
	s_sleep 1
	s_cbranch_execnz .LBB5_163
	s_branch .LBB5_165
	.p2align	6
.LBB5_162:
	s_branch .LBB5_165
.LBB5_163:                              ; =>This Inner Loop Header: Depth=1
	v_mov_b32_e32 v4, 1
	s_and_saveexec_b32 s6, s1
	s_cbranch_execz .LBB5_160
; %bb.164:                              ;   in Loop: Header=BB5_163 Depth=1
	global_load_b32 v4, v[1:2], off offset:20 glc
	s_waitcnt vmcnt(0)
	buffer_gl1_inv
	buffer_gl0_inv
	v_and_b32_e32 v4, 1, v4
	s_branch .LBB5_160
.LBB5_165:
	global_load_b64 v[1:2], v[12:13], off
	s_and_saveexec_b32 s6, s1
	s_cbranch_execz .LBB5_169
; %bb.166:
	v_mov_b32_e32 v10, 0
	s_clause 0x2
	global_load_b64 v[6:7], v10, s[4:5] offset:40
	global_load_b64 v[11:12], v10, s[4:5] offset:24 glc
	global_load_b64 v[8:9], v10, s[4:5]
	s_waitcnt vmcnt(2)
	v_add_co_u32 v13, vcc_lo, v6, 1
	v_add_co_ci_u32_e32 v14, vcc_lo, 0, v7, vcc_lo
	s_delay_alu instid0(VALU_DEP_2) | instskip(NEXT) | instid1(VALU_DEP_2)
	v_add_co_u32 v4, vcc_lo, v13, s2
	v_add_co_ci_u32_e32 v5, vcc_lo, s3, v14, vcc_lo
	s_delay_alu instid0(VALU_DEP_1) | instskip(SKIP_1) | instid1(VALU_DEP_1)
	v_cmp_eq_u64_e32 vcc_lo, 0, v[4:5]
	v_dual_cndmask_b32 v5, v5, v14 :: v_dual_cndmask_b32 v4, v4, v13
	v_and_b32_e32 v7, v5, v7
	s_delay_alu instid0(VALU_DEP_2) | instskip(NEXT) | instid1(VALU_DEP_2)
	v_and_b32_e32 v6, v4, v6
	v_mul_lo_u32 v7, v7, 24
	s_delay_alu instid0(VALU_DEP_2) | instskip(SKIP_1) | instid1(VALU_DEP_2)
	v_mul_hi_u32 v13, v6, 24
	v_mul_lo_u32 v6, v6, 24
	v_add_nc_u32_e32 v7, v13, v7
	s_waitcnt vmcnt(0)
	s_delay_alu instid0(VALU_DEP_2) | instskip(SKIP_1) | instid1(VALU_DEP_3)
	v_add_co_u32 v8, vcc_lo, v8, v6
	v_mov_b32_e32 v6, v11
	v_add_co_ci_u32_e32 v9, vcc_lo, v9, v7, vcc_lo
	v_mov_b32_e32 v7, v12
	global_store_b64 v[8:9], v[11:12], off
	s_waitcnt_vscnt null, 0x0
	global_atomic_cmpswap_b64 v[6:7], v10, v[4:7], s[4:5] offset:24 glc
	s_waitcnt vmcnt(0)
	v_cmp_ne_u64_e32 vcc_lo, v[6:7], v[11:12]
	s_and_b32 exec_lo, exec_lo, vcc_lo
	s_cbranch_execz .LBB5_169
; %bb.167:
	s_mov_b32 s1, 0
.LBB5_168:                              ; =>This Inner Loop Header: Depth=1
	s_sleep 1
	global_store_b64 v[8:9], v[6:7], off
	s_waitcnt_vscnt null, 0x0
	global_atomic_cmpswap_b64 v[11:12], v10, v[4:7], s[4:5] offset:24 glc
	s_waitcnt vmcnt(0)
	v_cmp_eq_u64_e32 vcc_lo, v[11:12], v[6:7]
	v_dual_mov_b32 v6, v11 :: v_dual_mov_b32 v7, v12
	s_or_b32 s1, vcc_lo, s1
	s_delay_alu instid0(SALU_CYCLE_1)
	s_and_not1_b32 exec_lo, exec_lo, s1
	s_cbranch_execnz .LBB5_168
.LBB5_169:
	s_or_b32 exec_lo, exec_lo, s6
	v_readfirstlane_b32 s1, v36
	v_mov_b32_e32 v9, 0
	v_mov_b32_e32 v10, 0
	s_delay_alu instid0(VALU_DEP_3) | instskip(NEXT) | instid1(VALU_DEP_1)
	v_cmp_eq_u32_e64 s1, s1, v36
	s_and_saveexec_b32 s2, s1
	s_cbranch_execz .LBB5_175
; %bb.170:
	v_mov_b32_e32 v4, 0
	s_mov_b32 s3, exec_lo
	global_load_b64 v[7:8], v4, s[4:5] offset:24 glc
	s_waitcnt vmcnt(0)
	buffer_gl1_inv
	buffer_gl0_inv
	s_clause 0x1
	global_load_b64 v[5:6], v4, s[4:5] offset:40
	global_load_b64 v[9:10], v4, s[4:5]
	s_waitcnt vmcnt(1)
	v_and_b32_e32 v5, v5, v7
	v_and_b32_e32 v6, v6, v8
	s_delay_alu instid0(VALU_DEP_2) | instskip(NEXT) | instid1(VALU_DEP_2)
	v_mul_hi_u32 v11, v5, 24
	v_mul_lo_u32 v6, v6, 24
	v_mul_lo_u32 v5, v5, 24
	s_delay_alu instid0(VALU_DEP_2) | instskip(SKIP_1) | instid1(VALU_DEP_2)
	v_add_nc_u32_e32 v6, v11, v6
	s_waitcnt vmcnt(0)
	v_add_co_u32 v5, vcc_lo, v9, v5
	s_delay_alu instid0(VALU_DEP_2)
	v_add_co_ci_u32_e32 v6, vcc_lo, v10, v6, vcc_lo
	global_load_b64 v[5:6], v[5:6], off glc
	s_waitcnt vmcnt(0)
	global_atomic_cmpswap_b64 v[9:10], v4, v[5:8], s[4:5] offset:24 glc
	s_waitcnt vmcnt(0)
	buffer_gl1_inv
	buffer_gl0_inv
	v_cmpx_ne_u64_e64 v[9:10], v[7:8]
	s_cbranch_execz .LBB5_174
; %bb.171:
	s_mov_b32 s6, 0
	.p2align	6
.LBB5_172:                              ; =>This Inner Loop Header: Depth=1
	s_sleep 1
	s_clause 0x1
	global_load_b64 v[5:6], v4, s[4:5] offset:40
	global_load_b64 v[11:12], v4, s[4:5]
	v_dual_mov_b32 v7, v9 :: v_dual_mov_b32 v8, v10
	s_waitcnt vmcnt(1)
	s_delay_alu instid0(VALU_DEP_1) | instskip(NEXT) | instid1(VALU_DEP_2)
	v_and_b32_e32 v5, v5, v7
	v_and_b32_e32 v6, v6, v8
	s_waitcnt vmcnt(0)
	s_delay_alu instid0(VALU_DEP_2) | instskip(NEXT) | instid1(VALU_DEP_1)
	v_mad_u64_u32 v[9:10], null, v5, 24, v[11:12]
	v_mov_b32_e32 v5, v10
	s_delay_alu instid0(VALU_DEP_1)
	v_mad_u64_u32 v[10:11], null, v6, 24, v[5:6]
	global_load_b64 v[5:6], v[9:10], off glc
	s_waitcnt vmcnt(0)
	global_atomic_cmpswap_b64 v[9:10], v4, v[5:8], s[4:5] offset:24 glc
	s_waitcnt vmcnt(0)
	buffer_gl1_inv
	buffer_gl0_inv
	v_cmp_eq_u64_e32 vcc_lo, v[9:10], v[7:8]
	s_or_b32 s6, vcc_lo, s6
	s_delay_alu instid0(SALU_CYCLE_1)
	s_and_not1_b32 exec_lo, exec_lo, s6
	s_cbranch_execnz .LBB5_172
; %bb.173:
	s_or_b32 exec_lo, exec_lo, s6
.LBB5_174:
	s_delay_alu instid0(SALU_CYCLE_1)
	s_or_b32 exec_lo, exec_lo, s3
.LBB5_175:
	s_delay_alu instid0(SALU_CYCLE_1)
	s_or_b32 exec_lo, exec_lo, s2
	v_mov_b32_e32 v4, 0
	v_readfirstlane_b32 s2, v9
	v_readfirstlane_b32 s3, v10
	s_mov_b32 s8, exec_lo
	s_clause 0x1
	global_load_b64 v[11:12], v4, s[4:5] offset:40
	global_load_b128 v[5:8], v4, s[4:5]
	s_waitcnt vmcnt(1)
	v_readfirstlane_b32 s6, v11
	v_readfirstlane_b32 s7, v12
	s_delay_alu instid0(VALU_DEP_1) | instskip(NEXT) | instid1(SALU_CYCLE_1)
	s_and_b64 s[6:7], s[2:3], s[6:7]
	s_mul_i32 s9, s7, 24
	s_mul_hi_u32 s10, s6, 24
	s_mul_i32 s11, s6, 24
	s_add_i32 s10, s10, s9
	s_waitcnt vmcnt(0)
	v_add_co_u32 v9, vcc_lo, v5, s11
	v_add_co_ci_u32_e32 v10, vcc_lo, s10, v6, vcc_lo
	s_and_saveexec_b32 s9, s1
	s_cbranch_execz .LBB5_177
; %bb.176:
	v_dual_mov_b32 v11, s8 :: v_dual_mov_b32 v12, v4
	v_dual_mov_b32 v13, 2 :: v_dual_mov_b32 v14, 1
	global_store_b128 v[9:10], v[11:14], off offset:8
.LBB5_177:
	s_or_b32 exec_lo, exec_lo, s9
	s_lshl_b64 s[6:7], s[6:7], 12
	s_mov_b32 s8, 0
	v_add_co_u32 v7, vcc_lo, v7, s6
	v_add_co_ci_u32_e32 v8, vcc_lo, s7, v8, vcc_lo
	s_mov_b32 s11, s8
	s_mov_b32 s9, s8
	s_mov_b32 s10, s8
	v_and_or_b32 v1, 0xffffff1d, v1, 34
	v_readfirstlane_b32 s6, v7
	v_readfirstlane_b32 s7, v8
	v_dual_mov_b32 v14, s11 :: v_dual_mov_b32 v13, s10
	v_dual_mov_b32 v12, s9 :: v_dual_mov_b32 v11, s8
	s_clause 0x3
	global_store_b128 v35, v[1:4], s[6:7]
	global_store_b128 v35, v[11:14], s[6:7] offset:16
	global_store_b128 v35, v[11:14], s[6:7] offset:32
	;; [unrolled: 1-line block ×3, first 2 shown]
	s_and_saveexec_b32 s6, s1
	s_cbranch_execz .LBB5_185
; %bb.178:
	v_dual_mov_b32 v7, 0 :: v_dual_mov_b32 v12, s3
	v_mov_b32_e32 v11, s2
	s_clause 0x1
	global_load_b64 v[13:14], v7, s[4:5] offset:32 glc
	global_load_b64 v[1:2], v7, s[4:5] offset:40
	s_waitcnt vmcnt(0)
	v_readfirstlane_b32 s8, v1
	v_readfirstlane_b32 s9, v2
	s_delay_alu instid0(VALU_DEP_1) | instskip(NEXT) | instid1(SALU_CYCLE_1)
	s_and_b64 s[8:9], s[8:9], s[2:3]
	s_mul_i32 s7, s9, 24
	s_mul_hi_u32 s9, s8, 24
	s_mul_i32 s8, s8, 24
	s_add_i32 s9, s9, s7
	v_add_co_u32 v5, vcc_lo, v5, s8
	v_add_co_ci_u32_e32 v6, vcc_lo, s9, v6, vcc_lo
	s_mov_b32 s7, exec_lo
	global_store_b64 v[5:6], v[13:14], off
	s_waitcnt_vscnt null, 0x0
	global_atomic_cmpswap_b64 v[3:4], v7, v[11:14], s[4:5] offset:32 glc
	s_waitcnt vmcnt(0)
	v_cmpx_ne_u64_e64 v[3:4], v[13:14]
	s_cbranch_execz .LBB5_181
; %bb.179:
	s_mov_b32 s8, 0
.LBB5_180:                              ; =>This Inner Loop Header: Depth=1
	v_dual_mov_b32 v1, s2 :: v_dual_mov_b32 v2, s3
	s_sleep 1
	global_store_b64 v[5:6], v[3:4], off
	s_waitcnt_vscnt null, 0x0
	global_atomic_cmpswap_b64 v[1:2], v7, v[1:4], s[4:5] offset:32 glc
	s_waitcnt vmcnt(0)
	v_cmp_eq_u64_e32 vcc_lo, v[1:2], v[3:4]
	v_dual_mov_b32 v4, v2 :: v_dual_mov_b32 v3, v1
	s_or_b32 s8, vcc_lo, s8
	s_delay_alu instid0(SALU_CYCLE_1)
	s_and_not1_b32 exec_lo, exec_lo, s8
	s_cbranch_execnz .LBB5_180
.LBB5_181:
	s_or_b32 exec_lo, exec_lo, s7
	v_mov_b32_e32 v4, 0
	s_mov_b32 s8, exec_lo
	s_mov_b32 s7, exec_lo
	v_mbcnt_lo_u32_b32 v3, s8, 0
	global_load_b64 v[1:2], v4, s[4:5] offset:16
	v_cmpx_eq_u32_e32 0, v3
	s_cbranch_execz .LBB5_183
; %bb.182:
	s_bcnt1_i32_b32 s8, s8
	s_delay_alu instid0(SALU_CYCLE_1)
	v_mov_b32_e32 v3, s8
	s_waitcnt vmcnt(0)
	global_atomic_add_u64 v[1:2], v[3:4], off offset:8
.LBB5_183:
	s_or_b32 exec_lo, exec_lo, s7
	s_waitcnt vmcnt(0)
	global_load_b64 v[3:4], v[1:2], off offset:16
	s_waitcnt vmcnt(0)
	v_cmp_eq_u64_e32 vcc_lo, 0, v[3:4]
	s_cbranch_vccnz .LBB5_185
; %bb.184:
	global_load_b32 v1, v[1:2], off offset:24
	s_waitcnt vmcnt(0)
	v_dual_mov_b32 v2, 0 :: v_dual_and_b32 v5, 0xffffff, v1
	s_waitcnt_vscnt null, 0x0
	global_store_b64 v[3:4], v[1:2], off
	v_readfirstlane_b32 m0, v5
	s_sendmsg sendmsg(MSG_INTERRUPT)
.LBB5_185:
	s_or_b32 exec_lo, exec_lo, s6
	s_branch .LBB5_189
	.p2align	6
.LBB5_186:                              ;   in Loop: Header=BB5_189 Depth=1
	s_or_b32 exec_lo, exec_lo, s6
	s_delay_alu instid0(VALU_DEP_1) | instskip(NEXT) | instid1(VALU_DEP_1)
	v_readfirstlane_b32 s6, v1
	s_cmp_eq_u32 s6, 0
	s_cbranch_scc1 .LBB5_188
; %bb.187:                              ;   in Loop: Header=BB5_189 Depth=1
	s_sleep 1
	s_cbranch_execnz .LBB5_189
	s_branch .LBB5_191
	.p2align	6
.LBB5_188:
	s_branch .LBB5_191
.LBB5_189:                              ; =>This Inner Loop Header: Depth=1
	v_mov_b32_e32 v1, 1
	s_and_saveexec_b32 s6, s1
	s_cbranch_execz .LBB5_186
; %bb.190:                              ;   in Loop: Header=BB5_189 Depth=1
	global_load_b32 v1, v[9:10], off offset:20 glc
	s_waitcnt vmcnt(0)
	buffer_gl1_inv
	buffer_gl0_inv
	v_and_b32_e32 v1, 1, v1
	s_branch .LBB5_186
.LBB5_191:
	s_and_b32 exec_lo, exec_lo, s1
	s_cbranch_execz .LBB5_195
; %bb.192:
	v_mov_b32_e32 v7, 0
	s_clause 0x2
	global_load_b64 v[3:4], v7, s[4:5] offset:40
	global_load_b64 v[8:9], v7, s[4:5] offset:24 glc
	global_load_b64 v[5:6], v7, s[4:5]
	s_waitcnt vmcnt(2)
	v_add_co_u32 v10, vcc_lo, v3, 1
	v_add_co_ci_u32_e32 v11, vcc_lo, 0, v4, vcc_lo
	s_delay_alu instid0(VALU_DEP_2) | instskip(NEXT) | instid1(VALU_DEP_2)
	v_add_co_u32 v1, vcc_lo, v10, s2
	v_add_co_ci_u32_e32 v2, vcc_lo, s3, v11, vcc_lo
	s_delay_alu instid0(VALU_DEP_1) | instskip(SKIP_1) | instid1(VALU_DEP_1)
	v_cmp_eq_u64_e32 vcc_lo, 0, v[1:2]
	v_dual_cndmask_b32 v2, v2, v11 :: v_dual_cndmask_b32 v1, v1, v10
	v_and_b32_e32 v4, v2, v4
	s_delay_alu instid0(VALU_DEP_2) | instskip(NEXT) | instid1(VALU_DEP_2)
	v_and_b32_e32 v3, v1, v3
	v_mul_lo_u32 v4, v4, 24
	s_delay_alu instid0(VALU_DEP_2) | instskip(SKIP_1) | instid1(VALU_DEP_2)
	v_mul_hi_u32 v10, v3, 24
	v_mul_lo_u32 v3, v3, 24
	v_add_nc_u32_e32 v4, v10, v4
	s_waitcnt vmcnt(0)
	s_delay_alu instid0(VALU_DEP_2) | instskip(SKIP_1) | instid1(VALU_DEP_3)
	v_add_co_u32 v5, vcc_lo, v5, v3
	v_mov_b32_e32 v3, v8
	v_add_co_ci_u32_e32 v6, vcc_lo, v6, v4, vcc_lo
	v_mov_b32_e32 v4, v9
	global_store_b64 v[5:6], v[8:9], off
	s_waitcnt_vscnt null, 0x0
	global_atomic_cmpswap_b64 v[3:4], v7, v[1:4], s[4:5] offset:24 glc
	s_waitcnt vmcnt(0)
	v_cmp_ne_u64_e32 vcc_lo, v[3:4], v[8:9]
	s_and_b32 exec_lo, exec_lo, vcc_lo
	s_cbranch_execz .LBB5_195
; %bb.193:
	s_mov_b32 s1, 0
.LBB5_194:                              ; =>This Inner Loop Header: Depth=1
	s_sleep 1
	global_store_b64 v[5:6], v[3:4], off
	s_waitcnt_vscnt null, 0x0
	global_atomic_cmpswap_b64 v[8:9], v7, v[1:4], s[4:5] offset:24 glc
	s_waitcnt vmcnt(0)
	v_cmp_eq_u64_e32 vcc_lo, v[8:9], v[3:4]
	v_dual_mov_b32 v3, v8 :: v_dual_mov_b32 v4, v9
	s_or_b32 s1, vcc_lo, s1
	s_delay_alu instid0(SALU_CYCLE_1)
	s_and_not1_b32 exec_lo, exec_lo, s1
	s_cbranch_execnz .LBB5_194
.LBB5_195:
	s_or_b32 exec_lo, exec_lo, s16
	v_or_b32_e32 v0, v0, v44
	s_xor_b32 s0, s0, -1
                                        ; implicit-def: $vgpr1
	s_delay_alu instid0(VALU_DEP_1) | instskip(SKIP_1) | instid1(SALU_CYCLE_1)
	v_cmp_lt_i32_e32 vcc_lo, -1, v0
	s_and_b32 s0, vcc_lo, s0
	s_and_saveexec_b32 s1, s0
	s_delay_alu instid0(SALU_CYCLE_1)
	s_xor_b32 s0, exec_lo, s1
	s_cbranch_execz .LBB5_197
; %bb.196:
	flat_load_b32 v0, v[40:41]
	v_lshl_or_b32 v32, v34, 1, 1
	s_waitcnt vmcnt(0) lgkmcnt(0)
	v_ashrrev_i32_e32 v1, 31, v0
	v_add_nc_u32_e32 v5, 1, v0
	s_delay_alu instid0(VALU_DEP_2) | instskip(NEXT) | instid1(VALU_DEP_1)
	v_lshlrev_b64 v[1:2], 3, v[0:1]
	v_add_co_u32 v3, vcc_lo, v40, v1
	s_delay_alu instid0(VALU_DEP_2)
	v_add_co_ci_u32_e32 v4, vcc_lo, v41, v2, vcc_lo
	v_lshl_or_b32 v1, v0, 1, 1
	s_clause 0x1
	flat_store_b32 v[40:41], v5
	flat_store_b64 v[3:4], v[32:33] offset:8
.LBB5_197:
	s_or_saveexec_b32 s19, s0
	s_mov_b32 s0, s17
	s_xor_b32 exec_lo, exec_lo, s19
	s_cbranch_execz .LBB5_199
; %bb.198:
	s_getpc_b64 s[0:1]
	s_add_u32 s0, s0, .str.46@rel32@lo+4
	s_addc_u32 s1, s1, .str.46@rel32@hi+12
	s_getpc_b64 s[2:3]
	s_add_u32 s2, s2, .str.44@rel32@lo+4
	s_addc_u32 s3, s3, .str.44@rel32@hi+12
	s_getpc_b64 s[4:5]
	s_add_u32 s4, s4, __PRETTY_FUNCTION__._ZN8subgUtil18formAndNodeKeyFlagEiii@rel32@lo+4
	s_addc_u32 s5, s5, __PRETTY_FUNCTION__._ZN8subgUtil18formAndNodeKeyFlagEiii@rel32@hi+12
	v_dual_mov_b32 v0, s0 :: v_dual_mov_b32 v1, s1
	v_dual_mov_b32 v2, s2 :: v_dual_mov_b32 v3, s3
	;; [unrolled: 1-line block ×3, first 2 shown]
	v_mov_b32_e32 v6, s5
	s_mov_b64 s[8:9], s[34:35]
	s_getpc_b64 s[6:7]
	s_add_u32 s6, s6, __assert_fail@rel32@lo+4
	s_addc_u32 s7, s7, __assert_fail@rel32@hi+12
	s_delay_alu instid0(SALU_CYCLE_1)
	s_swappc_b64 s[30:31], s[6:7]
	s_or_b32 s0, s17, exec_lo
                                        ; implicit-def: $vgpr1
.LBB5_199:
	s_or_b32 exec_lo, exec_lo, s19
	s_delay_alu instid0(SALU_CYCLE_1) | instskip(SKIP_1) | instid1(SALU_CYCLE_1)
	s_and_not1_b32 s1, s17, exec_lo
	s_and_b32 s0, s0, exec_lo
	s_or_b32 s17, s1, s0
	s_or_b32 exec_lo, exec_lo, s18
	s_and_saveexec_b32 s0, s17
	s_cbranch_execnz .LBB5_4
	s_branch .LBB5_5
.Lfunc_end5:
	.size	_ZN3sop19sopFactorTrivialRecEPjiiPN8subgUtil4SubgILi256EEE, .Lfunc_end5-_ZN3sop19sopFactorTrivialRecEPjiiPN8subgUtil4SubgILi256EEE
                                        ; -- End function
	.section	.AMDGPU.csdata,"",@progbits
; Function info:
; codeLenInByte = 8900
; NumSgprs: 46
; NumVgprs: 58
; ScratchSize: 144
; MemoryBound: 0
	.text
	.p2align	2                               ; -- Begin function _ZN3sop12sopFactorRecEPNS_3SopEiP7VecsMemIjLi8192EEPN8subgUtil4SubgILi256EEE
	.type	_ZN3sop12sopFactorRecEPNS_3SopEiP7VecsMemIjLi8192EEPN8subgUtil4SubgILi256EEE,@function
_ZN3sop12sopFactorRecEPNS_3SopEiP7VecsMemIjLi8192EEPN8subgUtil4SubgILi256EEE: ; @_ZN3sop12sopFactorRecEPNS_3SopEiP7VecsMemIjLi8192EEPN8subgUtil4SubgILi256EEE
; %bb.0:
	s_waitcnt vmcnt(0) expcnt(0) lgkmcnt(0)
	s_mov_b32 s0, s33
	s_mov_b32 s33, s32
	s_or_saveexec_b32 s1, -1
	s_clause 0x1
	scratch_store_b32 off, v43, s33 offset:176
	; meta instruction
	scratch_store_b32 off, v56, s33 offset:180
	s_mov_b32 exec_lo, s1
	v_writelane_b32 v43, s0, 23
	s_addk_i32 s32, 0xc0
	s_clause 0xf
	scratch_store_b32 off, v40, s33 offset:60
	; meta instruction
	scratch_store_b32 off, v41, s33 offset:56
	; meta instruction
	;; [unrolled: 2-line block ×15, first 2 shown]
	scratch_store_b32 off, v73, s33
	v_writelane_b32 v43, s34, 0
	v_writelane_b32 v43, s35, 1
	;; [unrolled: 1-line block ×23, first 2 shown]
	v_dual_mov_b32 v45, v6 :: v_dual_mov_b32 v60, v0
	v_dual_mov_b32 v61, v1 :: v_dual_mov_b32 v58, v3
	;; [unrolled: 1-line block ×3, first 2 shown]
	v_mov_b32_e32 v41, v2
	flat_load_b32 v72, v[60:61] offset:4
	s_mov_b64 s[44:45], s[8:9]
	s_mov_b32 s46, 0
	s_mov_b32 s0, exec_lo
	s_waitcnt vmcnt(0) lgkmcnt(0)
	v_cmpx_gt_i32_e32 1, v72
	s_xor_b32 s17, exec_lo, s0
	s_cbranch_execz .LBB6_5
; %bb.1:
	s_getpc_b64 s[0:1]
	s_add_u32 s0, s0, .str.33@rel32@lo+4
	s_addc_u32 s1, s1, .str.33@rel32@hi+12
	s_getpc_b64 s[2:3]
	s_add_u32 s2, s2, .str.31@rel32@lo+4
	s_addc_u32 s3, s3, .str.31@rel32@hi+12
	s_getpc_b64 s[4:5]
	s_add_u32 s4, s4, __PRETTY_FUNCTION__._ZN3sop12sopFactorRecEPNS_3SopEiP7VecsMemIjLi8192EEPN8subgUtil4SubgILi256EEE@rel32@lo+4
	s_addc_u32 s5, s5, __PRETTY_FUNCTION__._ZN3sop12sopFactorRecEPNS_3SopEiP7VecsMemIjLi8192EEPN8subgUtil4SubgILi256EEE@rel32@hi+12
	v_dual_mov_b32 v0, s0 :: v_dual_mov_b32 v1, s1
	v_dual_mov_b32 v2, s2 :: v_dual_mov_b32 v3, s3
	;; [unrolled: 1-line block ×3, first 2 shown]
	v_mov_b32_e32 v6, s5
	s_mov_b64 s[8:9], s[44:45]
	s_getpc_b64 s[6:7]
	s_add_u32 s6, s6, __assert_fail@rel32@lo+4
	s_addc_u32 s7, s7, __assert_fail@rel32@hi+12
	s_delay_alu instid0(SALU_CYCLE_1) | instskip(SKIP_2) | instid1(SALU_CYCLE_1)
	s_swappc_b64 s[30:31], s[6:7]
	s_mov_b32 s46, exec_lo
                                        ; implicit-def: $vgpr44
                                        ; implicit-def: $vgpr72
                                        ; implicit-def: $vgpr41
                                        ; implicit-def: $vgpr60_vgpr61
                                        ; implicit-def: $vgpr58
	s_or_saveexec_b32 s47, s17
                                        ; implicit-def: $vgpr40
	s_xor_b32 exec_lo, exec_lo, s47
	s_cbranch_execnz .LBB6_6
.LBB6_2:
	s_or_b32 exec_lo, exec_lo, s47
	s_and_saveexec_b32 s0, s46
.LBB6_3:
	; divergent unreachable
.LBB6_4:
	s_delay_alu instid0(SALU_CYCLE_1)
	s_or_b32 exec_lo, exec_lo, s0
	v_mov_b32_e32 v0, v40
	s_clause 0x1
	scratch_load_b32 v73, off, s33
	scratch_load_b32 v72, off, s33 offset:4
	s_waitcnt lgkmcnt(0)
	s_clause 0xd
	scratch_load_b32 v63, off, s33 offset:8
	scratch_load_b32 v62, off, s33 offset:12
	;; [unrolled: 1-line block ×14, first 2 shown]
	v_readlane_b32 s30, v43, 21
	v_readlane_b32 s31, v43, 22
	;; [unrolled: 1-line block ×24, first 2 shown]
	s_or_saveexec_b32 s1, -1
	s_clause 0x1
	scratch_load_b32 v43, off, s33 offset:176
	scratch_load_b32 v56, off, s33 offset:180
	s_mov_b32 exec_lo, s1
	s_addk_i32 s32, 0xff40
	s_mov_b32 s33, s0
	s_waitcnt vmcnt(0)
	s_setpc_b64 s[30:31]
.LBB6_5:
	s_or_saveexec_b32 s47, s17
                                        ; implicit-def: $vgpr40
	s_delay_alu instid0(SALU_CYCLE_1)
	s_xor_b32 exec_lo, exec_lo, s47
	s_cbranch_execz .LBB6_2
.LBB6_6:
	flat_load_b64 v[62:63], v[60:61] offset:8
	v_cmp_ne_u32_e32 vcc_lo, 1, v72
	v_cmp_lt_i32_e64 s0, 0, v41
	s_mov_b32 s48, 0
	s_delay_alu instid0(VALU_DEP_1)
	s_and_b32 s2, s0, vcc_lo
	s_mov_b32 s0, -1
	s_and_saveexec_b32 s1, s2
	s_cbranch_execz .LBB6_13
; %bb.7:
	s_mov_b32 s2, 0
	s_mov_b32 s4, 0
                                        ; implicit-def: $sgpr3
	s_set_inst_prefetch_distance 0x1
	s_branch .LBB6_9
	.p2align	6
.LBB6_8:                                ;   in Loop: Header=BB6_9 Depth=1
	s_or_b32 exec_lo, exec_lo, s6
	s_xor_b32 s5, s5, -1
	s_and_b32 s0, exec_lo, s0
	s_delay_alu instid0(SALU_CYCLE_1) | instskip(SKIP_2) | instid1(SALU_CYCLE_1)
	s_or_b32 s2, s0, s2
	s_and_not1_b32 s0, s3, exec_lo
	s_and_b32 s3, s5, exec_lo
	s_or_b32 s3, s0, s3
	s_and_not1_b32 exec_lo, exec_lo, s2
	s_cbranch_execz .LBB6_15
.LBB6_9:                                ; =>This Loop Header: Depth=1
                                        ;     Child Loop BB6_10 Depth 2
	s_waitcnt vmcnt(0) lgkmcnt(0)
	v_dual_mov_b32 v0, v62 :: v_dual_mov_b32 v3, v72
	v_dual_mov_b32 v2, 0 :: v_dual_mov_b32 v1, v63
	s_mov_b32 s5, 0
.LBB6_10:                               ;   Parent Loop BB6_9 Depth=1
                                        ; =>  This Inner Loop Header: Depth=2
	flat_load_b32 v4, v[0:1]
	v_add_nc_u32_e32 v3, -1, v3
	v_add_co_u32 v0, vcc_lo, v0, 4
	v_add_co_ci_u32_e32 v1, vcc_lo, 0, v1, vcc_lo
	s_delay_alu instid0(VALU_DEP_3) | instskip(NEXT) | instid1(VALU_DEP_1)
	v_cmp_eq_u32_e64 s0, 0, v3
	s_or_b32 s5, s0, s5
	s_waitcnt vmcnt(0) lgkmcnt(0)
	v_bfe_u32 v4, v4, s4, 1
	s_delay_alu instid0(VALU_DEP_1)
	v_add_nc_u32_e32 v2, v4, v2
	s_and_not1_b32 exec_lo, exec_lo, s5
	s_cbranch_execnz .LBB6_10
; %bb.11:                               ;   in Loop: Header=BB6_9 Depth=1
	s_or_b32 exec_lo, exec_lo, s5
	s_mov_b32 s0, -1
	s_mov_b32 s5, -1
	s_mov_b32 s6, exec_lo
	v_cmpx_gt_u32_e32 2, v2
	s_cbranch_execz .LBB6_8
; %bb.12:                               ;   in Loop: Header=BB6_9 Depth=1
	s_add_i32 s4, s4, 1
	s_xor_b32 s5, exec_lo, -1
	v_cmp_eq_u32_e32 vcc_lo, s4, v41
	s_or_not1_b32 s0, vcc_lo, exec_lo
	s_branch .LBB6_8
.LBB6_13:
	s_or_b32 exec_lo, exec_lo, s1
                                        ; implicit-def: $vgpr40
	s_and_saveexec_b32 s49, s0
	s_cbranch_execz .LBB6_16
.LBB6_14:
	s_waitcnt vmcnt(0) lgkmcnt(0)
	v_dual_mov_b32 v0, v62 :: v_dual_mov_b32 v1, v63
	v_dual_mov_b32 v2, v72 :: v_dual_mov_b32 v3, v41
	;; [unrolled: 1-line block ×3, first 2 shown]
	s_mov_b64 s[8:9], s[44:45]
	s_getpc_b64 s[0:1]
	s_add_u32 s0, s0, _ZN3sop19sopFactorTrivialRecEPjiiPN8subgUtil4SubgILi256EEE@rel32@lo+4
	s_addc_u32 s1, s1, _ZN3sop19sopFactorTrivialRecEPjiiPN8subgUtil4SubgILi256EEE@rel32@hi+12
	s_delay_alu instid0(SALU_CYCLE_1)
	s_swappc_b64 s[30:31], s[0:1]
	v_mov_b32_e32 v40, v0
	s_and_not1_b32 s48, s48, exec_lo
	s_or_b32 exec_lo, exec_lo, s49
	s_mov_b32 s0, s46
	s_and_saveexec_b32 s21, s48
	s_cbranch_execz .LBB6_2006
	s_branch .LBB6_17
.LBB6_15:
	s_set_inst_prefetch_distance 0x2
	s_or_b32 exec_lo, exec_lo, s2
	s_delay_alu instid0(SALU_CYCLE_1)
	s_mov_b32 s48, exec_lo
	s_or_not1_b32 s0, s3, exec_lo
	s_or_b32 exec_lo, exec_lo, s1
                                        ; implicit-def: $vgpr40
	s_and_saveexec_b32 s49, s0
	s_cbranch_execnz .LBB6_14
.LBB6_16:
	s_or_b32 exec_lo, exec_lo, s49
	s_mov_b32 s0, s46
	s_and_saveexec_b32 s21, s48
	s_cbranch_execz .LBB6_2006
.LBB6_17:
	flat_load_b32 v0, v[58:59]
	s_mov_b32 s17, s46
                                        ; implicit-def: $vgpr40
	s_mov_b32 s0, exec_lo
	v_mov_b32_e32 v73, 0
	scratch_store_b32 off, v73, s33 offset:132
	s_waitcnt vmcnt(0) lgkmcnt(0)
	v_add_nc_u32_e32 v0, v0, v72
	s_delay_alu instid0(VALU_DEP_1)
	v_cmpx_gt_i32_e32 0x2001, v0
	s_xor_b32 s22, exec_lo, s0
	s_cbranch_execz .LBB6_1870
; %bb.18:
	v_ashrrev_i32_e32 v1, 31, v0
	v_lshlrev_b64 v[3:4], 2, v[72:73]
	s_mov_b64 s[0:1], 0
	s_mov_b32 s2, 0
	s_mov_b32 s3, 0
	v_lshlrev_b64 v[1:2], 2, v[0:1]
	flat_store_b32 v[58:59], v0
	v_add_co_u32 v1, vcc_lo, v58, v1
	v_add_co_ci_u32_e32 v2, vcc_lo, v59, v2, vcc_lo
	s_delay_alu instid0(VALU_DEP_2) | instskip(NEXT) | instid1(VALU_DEP_2)
	v_sub_co_u32 v1, vcc_lo, v1, v3
	v_sub_co_ci_u32_e32 v2, vcc_lo, v2, v4, vcc_lo
	s_delay_alu instid0(VALU_DEP_2) | instskip(NEXT) | instid1(VALU_DEP_2)
	v_add_co_u32 v66, vcc_lo, v1, 4
	v_add_co_ci_u32_e32 v67, vcc_lo, 0, v2, vcc_lo
	scratch_store_b64 off, v[66:67], s33 offset:136
	.p2align	6
.LBB6_19:                               ; =>This Inner Loop Header: Depth=1
	v_add_co_u32 v0, vcc_lo, v62, s0
	v_add_co_ci_u32_e32 v1, vcc_lo, s1, v63, vcc_lo
	s_add_i32 s3, s3, 1
	flat_load_b32 v2, v[0:1]
	v_add_co_u32 v0, vcc_lo, v66, s0
	v_add_co_ci_u32_e32 v1, vcc_lo, s1, v67, vcc_lo
	s_add_u32 s0, s0, 4
	s_addc_u32 s1, s1, 0
	s_waitcnt vmcnt(0) lgkmcnt(0)
	flat_store_b32 v[0:1], v2
	flat_load_b32 v0, v[60:61] offset:4
	s_waitcnt vmcnt(0) lgkmcnt(0)
	v_cmp_ge_i32_e32 vcc_lo, s3, v0
	v_mov_b32_e32 v0, s3
	s_or_b32 s2, vcc_lo, s2
	s_delay_alu instid0(SALU_CYCLE_1)
	s_and_not1_b32 exec_lo, exec_lo, s2
	s_cbranch_execnz .LBB6_19
; %bb.20:
	s_or_b32 exec_lo, exec_lo, s2
	s_mov_b32 s4, 0
                                        ; implicit-def: $sgpr3
	s_branch .LBB6_23
.LBB6_21:                               ;   in Loop: Header=BB6_23 Depth=1
	s_or_b32 exec_lo, exec_lo, s2
	s_delay_alu instid0(SALU_CYCLE_1)
	s_xor_b32 s1, exec_lo, -1
.LBB6_22:                               ;   in Loop: Header=BB6_23 Depth=1
	s_or_b32 exec_lo, exec_lo, s5
	s_delay_alu instid0(SALU_CYCLE_1) | instskip(NEXT) | instid1(SALU_CYCLE_1)
	s_and_b32 s0, exec_lo, s1
	s_or_b32 s4, s0, s4
	s_and_not1_b32 s0, s3, exec_lo
	s_and_b32 s1, vcc_lo, exec_lo
	s_delay_alu instid0(SALU_CYCLE_1)
	s_or_b32 s3, s0, s1
	s_and_not1_b32 exec_lo, exec_lo, s4
	s_cbranch_execz .LBB6_43
.LBB6_23:                               ; =>This Loop Header: Depth=1
                                        ;     Child Loop BB6_25 Depth 2
                                        ;       Child Loop BB6_27 Depth 3
                                        ;     Child Loop BB6_33 Depth 2
                                        ;     Child Loop BB6_38 Depth 2
	;; [unrolled: 1-line block ×3, first 2 shown]
	v_dual_mov_b32 v55, v0 :: v_dual_mov_b32 v2, -1
	v_mov_b32_e32 v3, 0xf4240
	s_mov_b32 s5, 0
	s_mov_b32 s6, 0
	s_delay_alu instid0(VALU_DEP_2)
	v_cmp_lt_i32_e64 s0, 0, v55
	v_cmp_gt_i32_e32 vcc_lo, 1, v55
	s_set_inst_prefetch_distance 0x1
	s_branch .LBB6_25
	.p2align	6
.LBB6_24:                               ;   in Loop: Header=BB6_25 Depth=2
	s_or_b32 exec_lo, exec_lo, s7
	s_delay_alu instid0(VALU_DEP_1) | instskip(SKIP_1) | instid1(VALU_DEP_1)
	v_cmp_lt_i32_e64 s1, 1, v4
	v_cmp_gt_i32_e64 s2, v3, v4
	s_and_b32 s1, s1, s2
	s_delay_alu instid0(SALU_CYCLE_1) | instskip(SKIP_3) | instid1(VALU_DEP_1)
	v_cndmask_b32_e64 v2, v2, s6, s1
	s_add_i32 s6, s6, 1
	v_cndmask_b32_e64 v3, v3, v4, s1
	v_cmp_eq_u32_e64 s2, s6, v41
	s_or_b32 s5, s2, s5
	s_delay_alu instid0(SALU_CYCLE_1)
	s_and_not1_b32 exec_lo, exec_lo, s5
	s_cbranch_execz .LBB6_29
.LBB6_25:                               ;   Parent Loop BB6_23 Depth=1
                                        ; =>  This Loop Header: Depth=2
                                        ;       Child Loop BB6_27 Depth 3
	v_mov_b32_e32 v4, 0
	s_and_saveexec_b32 s7, s0
	s_cbranch_execz .LBB6_24
; %bb.26:                               ;   in Loop: Header=BB6_25 Depth=2
	v_dual_mov_b32 v0, v66 :: v_dual_mov_b32 v5, v55
	v_dual_mov_b32 v4, 0 :: v_dual_mov_b32 v1, v67
	s_mov_b32 s8, 0
.LBB6_27:                               ;   Parent Loop BB6_23 Depth=1
                                        ;     Parent Loop BB6_25 Depth=2
                                        ; =>    This Inner Loop Header: Depth=3
	flat_load_b32 v6, v[0:1]
	v_add_nc_u32_e32 v5, -1, v5
	v_add_co_u32 v0, s1, v0, 4
	s_delay_alu instid0(VALU_DEP_1) | instskip(NEXT) | instid1(VALU_DEP_3)
	v_add_co_ci_u32_e64 v1, s1, 0, v1, s1
	v_cmp_eq_u32_e64 s2, 0, v5
	s_delay_alu instid0(VALU_DEP_1) | instskip(SKIP_2) | instid1(VALU_DEP_1)
	s_or_b32 s8, s2, s8
	s_waitcnt vmcnt(0) lgkmcnt(0)
	v_bfe_u32 v6, v6, s6, 1
	v_add_nc_u32_e32 v4, v6, v4
	s_and_not1_b32 exec_lo, exec_lo, s8
	s_cbranch_execnz .LBB6_27
; %bb.28:                               ;   in Loop: Header=BB6_25 Depth=2
	s_or_b32 exec_lo, exec_lo, s8
	s_branch .LBB6_24
.LBB6_29:                               ;   in Loop: Header=BB6_23 Depth=1
	s_set_inst_prefetch_distance 0x2
	s_or_b32 exec_lo, exec_lo, s5
	v_cmp_gt_i32_e64 s1, 0xf4240, v3
	v_cmp_ne_u32_e64 s2, -1, v2
                                        ; implicit-def: $vgpr0
	s_delay_alu instid0(VALU_DEP_1)
	s_and_b32 s2, s1, s2
	s_mov_b32 s1, -1
	s_and_saveexec_b32 s5, s2
	s_cbranch_execz .LBB6_22
; %bb.30:                               ;   in Loop: Header=BB6_23 Depth=1
	v_mov_b32_e32 v0, 0
	s_and_saveexec_b32 s2, s0
	s_cbranch_execz .LBB6_36
; %bb.31:                               ;   in Loop: Header=BB6_23 Depth=1
	v_lshlrev_b32_e64 v4, v2, 1
	v_mov_b32_e32 v2, v66
	v_dual_mov_b32 v0, 0 :: v_dual_mov_b32 v3, v67
	s_mov_b32 s6, 0
	s_delay_alu instid0(VALU_DEP_3)
	v_not_b32_e32 v5, v4
	s_mov_b32 s7, 0
	s_set_inst_prefetch_distance 0x1
	s_branch .LBB6_33
	.p2align	6
.LBB6_32:                               ;   in Loop: Header=BB6_33 Depth=2
	s_or_b32 exec_lo, exec_lo, s1
	s_add_i32 s7, s7, 1
	v_add_co_u32 v2, s1, v2, 4
	v_cmp_ge_i32_e64 s0, s7, v55
	v_add_co_ci_u32_e64 v3, s1, 0, v3, s1
	s_delay_alu instid0(VALU_DEP_2) | instskip(NEXT) | instid1(SALU_CYCLE_1)
	s_or_b32 s6, s0, s6
	s_and_not1_b32 exec_lo, exec_lo, s6
	s_cbranch_execz .LBB6_35
.LBB6_33:                               ;   Parent Loop BB6_23 Depth=1
                                        ; =>  This Inner Loop Header: Depth=2
	flat_load_b32 v6, v[2:3]
	s_mov_b32 s1, exec_lo
	s_waitcnt vmcnt(0) lgkmcnt(0)
	v_and_b32_e32 v1, v6, v4
	s_delay_alu instid0(VALU_DEP_1)
	v_cmpx_ne_u32_e32 0, v1
	s_cbranch_execz .LBB6_32
; %bb.34:                               ;   in Loop: Header=BB6_33 Depth=2
	v_ashrrev_i32_e32 v1, 31, v0
	s_delay_alu instid0(VALU_DEP_1) | instskip(SKIP_2) | instid1(VALU_DEP_3)
	v_lshlrev_b64 v[7:8], 2, v[0:1]
	v_and_b32_e32 v1, v6, v5
	v_add_nc_u32_e32 v0, 1, v0
	v_add_co_u32 v6, s0, v66, v7
	s_delay_alu instid0(VALU_DEP_1)
	v_add_co_ci_u32_e64 v7, s0, v67, v8, s0
	flat_store_b32 v[6:7], v1
	s_branch .LBB6_32
.LBB6_35:                               ;   in Loop: Header=BB6_23 Depth=1
	s_set_inst_prefetch_distance 0x2
	s_or_b32 exec_lo, exec_lo, s6
.LBB6_36:                               ;   in Loop: Header=BB6_23 Depth=1
	s_delay_alu instid0(SALU_CYCLE_1) | instskip(NEXT) | instid1(VALU_DEP_1)
	s_or_b32 exec_lo, exec_lo, s2
	v_cmp_gt_i32_e64 s0, 1, v0
	v_mov_b32_e32 v3, -1
	s_mov_b32 s6, exec_lo
	v_cmpx_lt_i32_e32 0, v0
	s_cbranch_execz .LBB6_40
; %bb.37:                               ;   in Loop: Header=BB6_23 Depth=1
	v_dual_mov_b32 v1, v66 :: v_dual_mov_b32 v4, v0
	v_dual_mov_b32 v3, -1 :: v_dual_mov_b32 v2, v67
	s_mov_b32 s7, 0
.LBB6_38:                               ;   Parent Loop BB6_23 Depth=1
                                        ; =>  This Inner Loop Header: Depth=2
	flat_load_b32 v5, v[1:2]
	v_add_nc_u32_e32 v4, -1, v4
	v_add_co_u32 v1, s1, v1, 4
	s_delay_alu instid0(VALU_DEP_1) | instskip(NEXT) | instid1(VALU_DEP_3)
	v_add_co_ci_u32_e64 v2, s1, 0, v2, s1
	v_cmp_eq_u32_e64 s2, 0, v4
	s_delay_alu instid0(VALU_DEP_1)
	s_or_b32 s7, s2, s7
	s_waitcnt vmcnt(0) lgkmcnt(0)
	v_and_b32_e32 v3, v5, v3
	s_and_not1_b32 exec_lo, exec_lo, s7
	s_cbranch_execnz .LBB6_38
; %bb.39:                               ;   in Loop: Header=BB6_23 Depth=1
	s_or_b32 exec_lo, exec_lo, s7
.LBB6_40:                               ;   in Loop: Header=BB6_23 Depth=1
	s_delay_alu instid0(SALU_CYCLE_1)
	s_or_b32 exec_lo, exec_lo, s6
	v_cmp_ne_u32_e64 s1, 0, v3
	s_xor_b32 s0, s0, -1
	s_delay_alu instid0(VALU_DEP_1) | instid1(SALU_CYCLE_1)
	s_and_b32 s0, s0, s1
	s_delay_alu instid0(SALU_CYCLE_1)
	s_and_saveexec_b32 s2, s0
	s_cbranch_execz .LBB6_21
; %bb.41:                               ;   in Loop: Header=BB6_23 Depth=1
	v_not_b32_e32 v3, v3
	v_dual_mov_b32 v1, v66 :: v_dual_mov_b32 v2, v67
	v_mov_b32_e32 v4, v0
	s_mov_b32 s6, 0
.LBB6_42:                               ;   Parent Loop BB6_23 Depth=1
                                        ; =>  This Inner Loop Header: Depth=2
	flat_load_b32 v5, v[1:2]
	v_add_nc_u32_e32 v4, -1, v4
	s_delay_alu instid0(VALU_DEP_1) | instskip(NEXT) | instid1(VALU_DEP_1)
	v_cmp_eq_u32_e64 s0, 0, v4
	s_or_b32 s6, s0, s6
	s_waitcnt vmcnt(0) lgkmcnt(0)
	v_and_b32_e32 v5, v5, v3
	flat_store_b32 v[1:2], v5
	v_add_co_u32 v1, s1, v1, 4
	s_delay_alu instid0(VALU_DEP_1)
	v_add_co_ci_u32_e64 v2, s1, 0, v2, s1
	s_and_not1_b32 exec_lo, exec_lo, s6
	s_cbranch_execnz .LBB6_42
	s_branch .LBB6_21
.LBB6_43:
	s_or_b32 exec_lo, exec_lo, s4
	s_mov_b32 s18, s46
	scratch_store_b32 off, v55, s33 offset:132
	s_and_saveexec_b32 s0, s3
	s_delay_alu instid0(SALU_CYCLE_1)
	s_xor_b32 s17, exec_lo, s0
	s_cbranch_execz .LBB6_45
; %bb.44:
	s_getpc_b64 s[0:1]
	s_add_u32 s0, s0, .str.35@rel32@lo+4
	s_addc_u32 s1, s1, .str.35@rel32@hi+12
	s_getpc_b64 s[2:3]
	s_add_u32 s2, s2, .str.31@rel32@lo+4
	s_addc_u32 s3, s3, .str.31@rel32@hi+12
	s_getpc_b64 s[4:5]
	s_add_u32 s4, s4, __PRETTY_FUNCTION__._ZN3sop10sopDivisorEPNS_3SopES1_iP7VecsMemIjLi8192EE@rel32@lo+4
	s_addc_u32 s5, s5, __PRETTY_FUNCTION__._ZN3sop10sopDivisorEPNS_3SopES1_iP7VecsMemIjLi8192EE@rel32@hi+12
	v_dual_mov_b32 v0, s0 :: v_dual_mov_b32 v1, s1
	v_dual_mov_b32 v2, s2 :: v_dual_mov_b32 v3, s3
	;; [unrolled: 1-line block ×3, first 2 shown]
	v_mov_b32_e32 v6, s5
	s_mov_b64 s[8:9], s[44:45]
	s_getpc_b64 s[6:7]
	s_add_u32 s6, s6, __assert_fail@rel32@lo+4
	s_addc_u32 s7, s7, __assert_fail@rel32@hi+12
	s_delay_alu instid0(SALU_CYCLE_1)
	s_swappc_b64 s[30:31], s[6:7]
	s_or_b32 s18, s46, exec_lo
                                        ; implicit-def: $vgpr62_vgpr63
                                        ; implicit-def: $vgpr66_vgpr67
                                        ; implicit-def: $vgpr58_vgpr59
                                        ; implicit-def: $vgpr44_vgpr45
                                        ; implicit-def: $vgpr41
                                        ; implicit-def: $vgpr60_vgpr61
.LBB6_45:
	s_or_saveexec_b32 s23, s17
                                        ; implicit-def: $vgpr40
	s_delay_alu instid0(SALU_CYCLE_1)
	s_xor_b32 exec_lo, exec_lo, s23
	s_cbranch_execz .LBB6_1869
; %bb.46:
	flat_load_b32 v46, v[60:61] offset:4
	s_mov_b32 s17, s18
                                        ; implicit-def: $vgpr40
	s_mov_b32 s0, exec_lo
	s_waitcnt vmcnt(0) lgkmcnt(0)
	v_cmpx_ge_i32_e64 v46, v55
	s_xor_b32 s24, exec_lo, s0
	s_cbranch_execz .LBB6_1866
; %bb.47:
	s_mov_b32 s25, 0
	s_mov_b32 s1, 0
	;; [unrolled: 1-line block ×3, first 2 shown]
                                        ; implicit-def: $vgpr64
                                        ; implicit-def: $vgpr53_vgpr54
	s_mov_b32 s0, exec_lo
	v_cmpx_ne_u32_e32 1, v55
	s_xor_b32 s17, exec_lo, s0
	s_cbranch_execz .LBB6_162
; %bb.48:
	v_dual_mov_b32 v0, 0 :: v_dual_mov_b32 v53, 0
	v_mov_b32_e32 v54, 0
	s_mov_b32 s1, -1
	s_mov_b32 s19, s18
	s_mov_b32 s20, exec_lo
	scratch_store_b32 off, v0, s33 offset:148
	v_cmpx_le_u32_e64 v55, v46
	s_cbranch_execz .LBB6_202
; %bb.49:
	flat_load_b32 v3, v[58:59]
	v_cvt_f32_u32_e32 v0, v55
	v_sub_nc_u32_e32 v1, 0, v55
	s_mov_b32 s26, 0
	s_mov_b32 s0, exec_lo
	v_mov_b32_e32 v53, 0
	v_rcp_iflag_f32_e32 v0, v0
	v_mov_b32_e32 v54, 0
	s_waitcnt_depctr 0xfff
	v_mul_f32_e32 v0, 0x4f7ffffe, v0
	s_delay_alu instid0(VALU_DEP_1) | instskip(NEXT) | instid1(VALU_DEP_1)
	v_cvt_u32_f32_e32 v0, v0
	v_mul_lo_u32 v1, v1, v0
	s_delay_alu instid0(VALU_DEP_1) | instskip(NEXT) | instid1(VALU_DEP_1)
	v_mul_hi_u32 v1, v0, v1
	v_add_nc_u32_e32 v2, v0, v1
	s_delay_alu instid0(VALU_DEP_1) | instskip(NEXT) | instid1(VALU_DEP_1)
	v_mad_u64_u32 v[0:1], null, v46, v2, 0
	v_mul_lo_u32 v0, v1, v55
	v_add_nc_u32_e32 v2, 1, v1
	s_delay_alu instid0(VALU_DEP_2) | instskip(NEXT) | instid1(VALU_DEP_1)
	v_sub_nc_u32_e32 v0, v46, v0
	v_sub_nc_u32_e32 v4, v0, v55
	v_cmp_ge_u32_e32 vcc_lo, v0, v55
	s_delay_alu instid0(VALU_DEP_2) | instskip(NEXT) | instid1(VALU_DEP_1)
	v_dual_cndmask_b32 v1, v1, v2 :: v_dual_cndmask_b32 v0, v0, v4
	v_add_nc_u32_e32 v2, 1, v1
	s_delay_alu instid0(VALU_DEP_2) | instskip(NEXT) | instid1(VALU_DEP_2)
	v_cmp_ge_u32_e32 vcc_lo, v0, v55
	v_cndmask_b32_e32 v2, v1, v2, vcc_lo
	s_waitcnt vmcnt(0) lgkmcnt(0)
	s_delay_alu instid0(VALU_DEP_1) | instskip(NEXT) | instid1(VALU_DEP_1)
	v_add_nc_u32_e32 v0, v3, v2
	v_cmpx_gt_i32_e32 0x2001, v0
	s_xor_b32 s0, exec_lo, s0
	s_cbranch_execz .LBB6_51
; %bb.50:
	v_ashrrev_i32_e32 v1, 31, v0
	v_mov_b32_e32 v3, 0
	s_mov_b32 s26, exec_lo
	flat_store_b32 v[58:59], v0
	v_lshlrev_b64 v[4:5], 2, v[0:1]
	v_lshlrev_b64 v[1:2], 2, v[2:3]
	s_delay_alu instid0(VALU_DEP_2) | instskip(NEXT) | instid1(VALU_DEP_3)
	v_add_co_u32 v3, vcc_lo, v58, v4
	v_add_co_ci_u32_e32 v4, vcc_lo, v59, v5, vcc_lo
	s_delay_alu instid0(VALU_DEP_2) | instskip(NEXT) | instid1(VALU_DEP_2)
	v_sub_co_u32 v1, vcc_lo, v3, v1
	v_sub_co_ci_u32_e32 v2, vcc_lo, v4, v2, vcc_lo
	s_delay_alu instid0(VALU_DEP_2) | instskip(NEXT) | instid1(VALU_DEP_2)
	v_add_co_u32 v53, vcc_lo, v1, 4
	v_add_co_ci_u32_e32 v54, vcc_lo, 0, v2, vcc_lo
.LBB6_51:
	s_or_saveexec_b32 s19, s0
	s_mov_b32 s0, s18
	s_xor_b32 exec_lo, exec_lo, s19
	s_cbranch_execz .LBB6_201
; %bb.52:
	s_load_b64 s[2:3], s[44:45], 0x50
	v_mbcnt_lo_u32_b32 v29, -1, 0
	v_mov_b32_e32 v6, 0
	v_mov_b32_e32 v7, 0
	s_delay_alu instid0(VALU_DEP_3) | instskip(NEXT) | instid1(VALU_DEP_1)
	v_readfirstlane_b32 s0, v29
	v_cmp_eq_u32_e64 s0, s0, v29
	s_delay_alu instid0(VALU_DEP_1)
	s_and_saveexec_b32 s1, s0
	s_cbranch_execz .LBB6_58
; %bb.53:
	v_mov_b32_e32 v0, 0
	s_mov_b32 s4, exec_lo
	s_waitcnt lgkmcnt(0)
	global_load_b64 v[3:4], v0, s[2:3] offset:24 glc
	s_waitcnt vmcnt(0)
	buffer_gl1_inv
	buffer_gl0_inv
	s_clause 0x1
	global_load_b64 v[1:2], v0, s[2:3] offset:40
	global_load_b64 v[5:6], v0, s[2:3]
	s_waitcnt vmcnt(1)
	v_and_b32_e32 v1, v1, v3
	v_and_b32_e32 v2, v2, v4
	s_delay_alu instid0(VALU_DEP_2) | instskip(NEXT) | instid1(VALU_DEP_2)
	v_mul_hi_u32 v7, v1, 24
	v_mul_lo_u32 v2, v2, 24
	v_mul_lo_u32 v1, v1, 24
	s_delay_alu instid0(VALU_DEP_2) | instskip(SKIP_1) | instid1(VALU_DEP_2)
	v_add_nc_u32_e32 v2, v7, v2
	s_waitcnt vmcnt(0)
	v_add_co_u32 v1, vcc_lo, v5, v1
	s_delay_alu instid0(VALU_DEP_2)
	v_add_co_ci_u32_e32 v2, vcc_lo, v6, v2, vcc_lo
	global_load_b64 v[1:2], v[1:2], off glc
	s_waitcnt vmcnt(0)
	global_atomic_cmpswap_b64 v[6:7], v0, v[1:4], s[2:3] offset:24 glc
	s_waitcnt vmcnt(0)
	buffer_gl1_inv
	buffer_gl0_inv
	v_cmpx_ne_u64_e64 v[6:7], v[3:4]
	s_cbranch_execz .LBB6_57
; %bb.54:
	s_mov_b32 s5, 0
.LBB6_55:                               ; =>This Inner Loop Header: Depth=1
	s_sleep 1
	s_clause 0x1
	global_load_b64 v[1:2], v0, s[2:3] offset:40
	global_load_b64 v[8:9], v0, s[2:3]
	v_dual_mov_b32 v3, v6 :: v_dual_mov_b32 v4, v7
	s_waitcnt vmcnt(1)
	s_delay_alu instid0(VALU_DEP_1) | instskip(NEXT) | instid1(VALU_DEP_2)
	v_and_b32_e32 v1, v1, v3
	v_and_b32_e32 v2, v2, v4
	s_waitcnt vmcnt(0)
	s_delay_alu instid0(VALU_DEP_2) | instskip(NEXT) | instid1(VALU_DEP_1)
	v_mad_u64_u32 v[5:6], null, v1, 24, v[8:9]
	v_mov_b32_e32 v1, v6
	s_delay_alu instid0(VALU_DEP_1)
	v_mad_u64_u32 v[6:7], null, v2, 24, v[1:2]
	global_load_b64 v[1:2], v[5:6], off glc
	s_waitcnt vmcnt(0)
	global_atomic_cmpswap_b64 v[6:7], v0, v[1:4], s[2:3] offset:24 glc
	s_waitcnt vmcnt(0)
	buffer_gl1_inv
	buffer_gl0_inv
	v_cmp_eq_u64_e32 vcc_lo, v[6:7], v[3:4]
	s_or_b32 s5, vcc_lo, s5
	s_delay_alu instid0(SALU_CYCLE_1)
	s_and_not1_b32 exec_lo, exec_lo, s5
	s_cbranch_execnz .LBB6_55
; %bb.56:
	s_or_b32 exec_lo, exec_lo, s5
.LBB6_57:
	s_delay_alu instid0(SALU_CYCLE_1)
	s_or_b32 exec_lo, exec_lo, s4
.LBB6_58:
	s_delay_alu instid0(SALU_CYCLE_1)
	s_or_b32 exec_lo, exec_lo, s1
	v_mov_b32_e32 v5, 0
	v_readfirstlane_b32 s4, v6
	v_readfirstlane_b32 s5, v7
	s_mov_b32 s1, exec_lo
	s_waitcnt lgkmcnt(0)
	s_clause 0x1
	global_load_b64 v[8:9], v5, s[2:3] offset:40
	global_load_b128 v[0:3], v5, s[2:3]
	s_waitcnt vmcnt(1)
	v_readfirstlane_b32 s6, v8
	v_readfirstlane_b32 s7, v9
	s_delay_alu instid0(VALU_DEP_1) | instskip(NEXT) | instid1(SALU_CYCLE_1)
	s_and_b64 s[6:7], s[4:5], s[6:7]
	s_mul_i32 s8, s7, 24
	s_mul_hi_u32 s9, s6, 24
	s_mul_i32 s10, s6, 24
	s_add_i32 s9, s9, s8
	s_waitcnt vmcnt(0)
	v_add_co_u32 v8, vcc_lo, v0, s10
	v_add_co_ci_u32_e32 v9, vcc_lo, s9, v1, vcc_lo
	s_and_saveexec_b32 s8, s0
	s_cbranch_execz .LBB6_60
; %bb.59:
	v_dual_mov_b32 v4, s1 :: v_dual_mov_b32 v7, 1
	v_mov_b32_e32 v6, 2
	global_store_b128 v[8:9], v[4:7], off offset:8
.LBB6_60:
	s_or_b32 exec_lo, exec_lo, s8
	s_lshl_b64 s[6:7], s[6:7], 12
	v_dual_mov_b32 v7, v5 :: v_dual_lshlrev_b32 v28, 6, v29
	v_add_co_u32 v2, vcc_lo, v2, s6
	v_add_co_ci_u32_e32 v3, vcc_lo, s7, v3, vcc_lo
	s_mov_b32 s8, 0
	s_delay_alu instid0(VALU_DEP_2)
	v_add_co_u32 v10, vcc_lo, v2, v28
	s_mov_b32 s11, s8
	s_mov_b32 s9, s8
	;; [unrolled: 1-line block ×3, first 2 shown]
	v_dual_mov_b32 v4, 33 :: v_dual_mov_b32 v15, s11
	v_dual_mov_b32 v6, v5 :: v_dual_mov_b32 v13, s9
	v_readfirstlane_b32 s6, v2
	v_readfirstlane_b32 s7, v3
	v_add_co_ci_u32_e32 v11, vcc_lo, 0, v3, vcc_lo
	v_mov_b32_e32 v14, s10
	v_mov_b32_e32 v12, s8
	s_clause 0x3
	global_store_b128 v28, v[4:7], s[6:7]
	global_store_b128 v28, v[12:15], s[6:7] offset:16
	global_store_b128 v28, v[12:15], s[6:7] offset:32
	;; [unrolled: 1-line block ×3, first 2 shown]
	s_and_saveexec_b32 s1, s0
	s_cbranch_execz .LBB6_68
; %bb.61:
	v_mov_b32_e32 v6, 0
	s_mov_b32 s6, exec_lo
	s_clause 0x1
	global_load_b64 v[14:15], v6, s[2:3] offset:32 glc
	global_load_b64 v[2:3], v6, s[2:3] offset:40
	v_dual_mov_b32 v13, s5 :: v_dual_mov_b32 v12, s4
	s_waitcnt vmcnt(0)
	v_and_b32_e32 v3, s5, v3
	v_and_b32_e32 v2, s4, v2
	s_delay_alu instid0(VALU_DEP_2) | instskip(NEXT) | instid1(VALU_DEP_2)
	v_mul_lo_u32 v3, v3, 24
	v_mul_hi_u32 v4, v2, 24
	v_mul_lo_u32 v2, v2, 24
	s_delay_alu instid0(VALU_DEP_2) | instskip(NEXT) | instid1(VALU_DEP_2)
	v_add_nc_u32_e32 v3, v4, v3
	v_add_co_u32 v4, vcc_lo, v0, v2
	s_delay_alu instid0(VALU_DEP_2)
	v_add_co_ci_u32_e32 v5, vcc_lo, v1, v3, vcc_lo
	global_store_b64 v[4:5], v[14:15], off
	s_waitcnt_vscnt null, 0x0
	global_atomic_cmpswap_b64 v[2:3], v6, v[12:15], s[2:3] offset:32 glc
	s_waitcnt vmcnt(0)
	v_cmpx_ne_u64_e64 v[2:3], v[14:15]
	s_cbranch_execz .LBB6_64
; %bb.62:
	s_mov_b32 s7, 0
.LBB6_63:                               ; =>This Inner Loop Header: Depth=1
	v_dual_mov_b32 v0, s4 :: v_dual_mov_b32 v1, s5
	s_sleep 1
	global_store_b64 v[4:5], v[2:3], off
	s_waitcnt_vscnt null, 0x0
	global_atomic_cmpswap_b64 v[0:1], v6, v[0:3], s[2:3] offset:32 glc
	s_waitcnt vmcnt(0)
	v_cmp_eq_u64_e32 vcc_lo, v[0:1], v[2:3]
	v_dual_mov_b32 v3, v1 :: v_dual_mov_b32 v2, v0
	s_or_b32 s7, vcc_lo, s7
	s_delay_alu instid0(SALU_CYCLE_1)
	s_and_not1_b32 exec_lo, exec_lo, s7
	s_cbranch_execnz .LBB6_63
.LBB6_64:
	s_or_b32 exec_lo, exec_lo, s6
	v_mov_b32_e32 v3, 0
	s_mov_b32 s7, exec_lo
	s_mov_b32 s6, exec_lo
	v_mbcnt_lo_u32_b32 v2, s7, 0
	global_load_b64 v[0:1], v3, s[2:3] offset:16
	v_cmpx_eq_u32_e32 0, v2
	s_cbranch_execz .LBB6_66
; %bb.65:
	s_bcnt1_i32_b32 s7, s7
	s_delay_alu instid0(SALU_CYCLE_1)
	v_mov_b32_e32 v2, s7
	s_waitcnt vmcnt(0)
	global_atomic_add_u64 v[0:1], v[2:3], off offset:8
.LBB6_66:
	s_or_b32 exec_lo, exec_lo, s6
	s_waitcnt vmcnt(0)
	global_load_b64 v[2:3], v[0:1], off offset:16
	s_waitcnt vmcnt(0)
	v_cmp_eq_u64_e32 vcc_lo, 0, v[2:3]
	s_cbranch_vccnz .LBB6_68
; %bb.67:
	global_load_b32 v0, v[0:1], off offset:24
	s_waitcnt vmcnt(0)
	v_dual_mov_b32 v1, 0 :: v_dual_and_b32 v4, 0xffffff, v0
	s_waitcnt_vscnt null, 0x0
	global_store_b64 v[2:3], v[0:1], off
	v_readfirstlane_b32 m0, v4
	s_sendmsg sendmsg(MSG_INTERRUPT)
.LBB6_68:
	s_or_b32 exec_lo, exec_lo, s1
	s_branch .LBB6_70
.LBB6_69:
	s_branch .LBB6_74
.LBB6_70:                               ; =>This Inner Loop Header: Depth=1
	v_mov_b32_e32 v0, 1
	s_and_saveexec_b32 s1, s0
	s_cbranch_execz .LBB6_72
; %bb.71:                               ;   in Loop: Header=BB6_70 Depth=1
	global_load_b32 v0, v[8:9], off offset:20 glc
	s_waitcnt vmcnt(0)
	buffer_gl1_inv
	buffer_gl0_inv
	v_and_b32_e32 v0, 1, v0
.LBB6_72:                               ;   in Loop: Header=BB6_70 Depth=1
	s_or_b32 exec_lo, exec_lo, s1
	s_delay_alu instid0(VALU_DEP_1) | instskip(NEXT) | instid1(VALU_DEP_1)
	v_readfirstlane_b32 s1, v0
	s_cmp_eq_u32 s1, 0
	s_cbranch_scc1 .LBB6_69
; %bb.73:                               ;   in Loop: Header=BB6_70 Depth=1
	s_sleep 1
	s_cbranch_execnz .LBB6_70
.LBB6_74:
	global_load_b64 v[0:1], v[10:11], off
	s_and_saveexec_b32 s1, s0
	s_cbranch_execz .LBB6_78
; %bb.75:
	v_mov_b32_e32 v8, 0
	s_clause 0x2
	global_load_b64 v[4:5], v8, s[2:3] offset:40
	global_load_b64 v[9:10], v8, s[2:3] offset:24 glc
	global_load_b64 v[6:7], v8, s[2:3]
	s_waitcnt vmcnt(2)
	v_add_co_u32 v11, vcc_lo, v4, 1
	v_add_co_ci_u32_e32 v12, vcc_lo, 0, v5, vcc_lo
	s_delay_alu instid0(VALU_DEP_2) | instskip(NEXT) | instid1(VALU_DEP_2)
	v_add_co_u32 v2, vcc_lo, v11, s4
	v_add_co_ci_u32_e32 v3, vcc_lo, s5, v12, vcc_lo
	s_delay_alu instid0(VALU_DEP_1) | instskip(SKIP_1) | instid1(VALU_DEP_1)
	v_cmp_eq_u64_e32 vcc_lo, 0, v[2:3]
	v_dual_cndmask_b32 v3, v3, v12 :: v_dual_cndmask_b32 v2, v2, v11
	v_and_b32_e32 v5, v3, v5
	s_delay_alu instid0(VALU_DEP_2) | instskip(NEXT) | instid1(VALU_DEP_2)
	v_and_b32_e32 v4, v2, v4
	v_mul_lo_u32 v5, v5, 24
	s_delay_alu instid0(VALU_DEP_2) | instskip(SKIP_1) | instid1(VALU_DEP_2)
	v_mul_hi_u32 v11, v4, 24
	v_mul_lo_u32 v4, v4, 24
	v_add_nc_u32_e32 v5, v11, v5
	s_waitcnt vmcnt(0)
	s_delay_alu instid0(VALU_DEP_2) | instskip(SKIP_1) | instid1(VALU_DEP_3)
	v_add_co_u32 v6, vcc_lo, v6, v4
	v_mov_b32_e32 v4, v9
	v_add_co_ci_u32_e32 v7, vcc_lo, v7, v5, vcc_lo
	v_mov_b32_e32 v5, v10
	global_store_b64 v[6:7], v[9:10], off
	s_waitcnt_vscnt null, 0x0
	global_atomic_cmpswap_b64 v[4:5], v8, v[2:5], s[2:3] offset:24 glc
	s_waitcnt vmcnt(0)
	v_cmp_ne_u64_e32 vcc_lo, v[4:5], v[9:10]
	s_and_b32 exec_lo, exec_lo, vcc_lo
	s_cbranch_execz .LBB6_78
; %bb.76:
	s_mov_b32 s0, 0
.LBB6_77:                               ; =>This Inner Loop Header: Depth=1
	s_sleep 1
	global_store_b64 v[6:7], v[4:5], off
	s_waitcnt_vscnt null, 0x0
	global_atomic_cmpswap_b64 v[9:10], v8, v[2:5], s[2:3] offset:24 glc
	s_waitcnt vmcnt(0)
	v_cmp_eq_u64_e32 vcc_lo, v[9:10], v[4:5]
	v_dual_mov_b32 v4, v9 :: v_dual_mov_b32 v5, v10
	s_or_b32 s0, vcc_lo, s0
	s_delay_alu instid0(SALU_CYCLE_1)
	s_and_not1_b32 exec_lo, exec_lo, s0
	s_cbranch_execnz .LBB6_77
.LBB6_78:
	s_or_b32 exec_lo, exec_lo, s1
	s_getpc_b64 s[4:5]
	s_add_u32 s4, s4, .str.28@rel32@lo+4
	s_addc_u32 s5, s5, .str.28@rel32@hi+12
	s_delay_alu instid0(SALU_CYCLE_1)
	s_cmp_lg_u64 s[4:5], 0
	s_cbranch_scc0 .LBB6_171
; %bb.79:
	s_waitcnt vmcnt(0)
	v_dual_mov_b32 v7, v1 :: v_dual_and_b32 v6, -3, v0
	v_dual_mov_b32 v3, 0 :: v_dual_mov_b32 v4, 2
	v_mov_b32_e32 v5, 1
	s_mov_b64 s[6:7], 35
	s_branch .LBB6_81
.LBB6_80:                               ;   in Loop: Header=BB6_81 Depth=1
	s_or_b32 exec_lo, exec_lo, s1
	s_sub_u32 s6, s6, s8
	s_subb_u32 s7, s7, s9
	s_add_u32 s4, s4, s8
	s_addc_u32 s5, s5, s9
	s_cmp_lg_u64 s[6:7], 0
	s_cbranch_scc0 .LBB6_170
.LBB6_81:                               ; =>This Loop Header: Depth=1
                                        ;     Child Loop BB6_84 Depth 2
                                        ;     Child Loop BB6_89 Depth 2
	;; [unrolled: 1-line block ×11, first 2 shown]
	v_cmp_lt_u64_e64 s0, s[6:7], 56
	v_cmp_gt_u64_e64 s1, s[6:7], 7
                                        ; implicit-def: $sgpr14
	s_delay_alu instid0(VALU_DEP_2) | instskip(SKIP_2) | instid1(VALU_DEP_1)
	s_and_b32 s0, s0, exec_lo
	s_cselect_b32 s9, s7, 0
	s_cselect_b32 s8, s6, 56
	s_and_b32 vcc_lo, exec_lo, s1
	s_mov_b32 s0, -1
	s_cbranch_vccnz .LBB6_91
; %bb.82:                               ;   in Loop: Header=BB6_81 Depth=1
	s_waitcnt vmcnt(0)
	v_mov_b32_e32 v8, 0
	v_mov_b32_e32 v9, 0
	s_cmp_eq_u64 s[6:7], 0
	s_mov_b64 s[0:1], 0
	s_cbranch_scc1 .LBB6_85
; %bb.83:                               ;   in Loop: Header=BB6_81 Depth=1
	v_mov_b32_e32 v8, 0
	v_mov_b32_e32 v9, 0
	s_lshl_b64 s[10:11], s[8:9], 3
	s_mov_b64 s[12:13], s[4:5]
.LBB6_84:                               ;   Parent Loop BB6_81 Depth=1
                                        ; =>  This Inner Loop Header: Depth=2
	global_load_u8 v2, v3, s[12:13]
	s_waitcnt vmcnt(0)
	v_and_b32_e32 v2, 0xffff, v2
	s_delay_alu instid0(VALU_DEP_1)
	v_lshlrev_b64 v[10:11], s0, v[2:3]
	s_add_u32 s0, s0, 8
	s_addc_u32 s1, s1, 0
	s_add_u32 s12, s12, 1
	s_addc_u32 s13, s13, 0
	s_cmp_lg_u32 s10, s0
	v_or_b32_e32 v8, v10, v8
	v_or_b32_e32 v9, v11, v9
	s_cbranch_scc1 .LBB6_84
.LBB6_85:                               ;   in Loop: Header=BB6_81 Depth=1
	s_mov_b32 s14, 0
	s_mov_b64 s[0:1], s[4:5]
	s_cbranch_execz .LBB6_92
.LBB6_86:                               ;   in Loop: Header=BB6_81 Depth=1
	s_cmp_gt_u32 s14, 7
	s_cbranch_scc1 .LBB6_93
.LBB6_87:                               ;   in Loop: Header=BB6_81 Depth=1
	v_mov_b32_e32 v10, 0
	v_mov_b32_e32 v11, 0
	s_cmp_eq_u32 s14, 0
	s_cbranch_scc1 .LBB6_90
; %bb.88:                               ;   in Loop: Header=BB6_81 Depth=1
	s_mov_b64 s[10:11], 0
	s_mov_b64 s[12:13], 0
.LBB6_89:                               ;   Parent Loop BB6_81 Depth=1
                                        ; =>  This Inner Loop Header: Depth=2
	s_delay_alu instid0(SALU_CYCLE_1)
	s_add_u32 s28, s0, s12
	s_addc_u32 s29, s1, s13
	s_add_u32 s12, s12, 1
	global_load_u8 v2, v3, s[28:29]
	s_addc_u32 s13, s13, 0
	s_waitcnt vmcnt(0)
	v_and_b32_e32 v2, 0xffff, v2
	s_delay_alu instid0(VALU_DEP_1) | instskip(SKIP_3) | instid1(VALU_DEP_1)
	v_lshlrev_b64 v[12:13], s10, v[2:3]
	s_add_u32 s10, s10, 8
	s_addc_u32 s11, s11, 0
	s_cmp_lg_u32 s14, s12
	v_or_b32_e32 v10, v12, v10
	s_delay_alu instid0(VALU_DEP_2)
	v_or_b32_e32 v11, v13, v11
	s_cbranch_scc1 .LBB6_89
.LBB6_90:                               ;   in Loop: Header=BB6_81 Depth=1
	s_mov_b32 s10, 0
	s_mov_b32 s15, 0
	s_branch .LBB6_94
.LBB6_91:                               ;   in Loop: Header=BB6_81 Depth=1
	s_and_not1_b32 vcc_lo, exec_lo, s0
	s_mov_b64 s[0:1], s[4:5]
	s_cbranch_vccnz .LBB6_86
.LBB6_92:                               ;   in Loop: Header=BB6_81 Depth=1
	global_load_b64 v[8:9], v3, s[4:5]
	s_add_i32 s14, s8, -8
	s_add_u32 s0, s4, 8
	s_addc_u32 s1, s5, 0
	s_cmp_gt_u32 s14, 7
	s_cbranch_scc0 .LBB6_87
.LBB6_93:                               ;   in Loop: Header=BB6_81 Depth=1
	s_mov_b32 s10, -1
                                        ; implicit-def: $vgpr10_vgpr11
                                        ; implicit-def: $sgpr15
.LBB6_94:                               ;   in Loop: Header=BB6_81 Depth=1
	s_delay_alu instid0(SALU_CYCLE_1)
	s_and_not1_b32 vcc_lo, exec_lo, s10
	s_cbranch_vccnz .LBB6_96
; %bb.95:                               ;   in Loop: Header=BB6_81 Depth=1
	global_load_b64 v[10:11], v3, s[0:1]
	s_add_i32 s15, s14, -8
	s_add_u32 s0, s0, 8
	s_addc_u32 s1, s1, 0
.LBB6_96:                               ;   in Loop: Header=BB6_81 Depth=1
	s_cmp_gt_u32 s15, 7
	s_cbranch_scc1 .LBB6_101
; %bb.97:                               ;   in Loop: Header=BB6_81 Depth=1
	v_mov_b32_e32 v12, 0
	v_mov_b32_e32 v13, 0
	s_cmp_eq_u32 s15, 0
	s_cbranch_scc1 .LBB6_100
; %bb.98:                               ;   in Loop: Header=BB6_81 Depth=1
	s_mov_b64 s[10:11], 0
	s_mov_b64 s[12:13], 0
.LBB6_99:                               ;   Parent Loop BB6_81 Depth=1
                                        ; =>  This Inner Loop Header: Depth=2
	s_delay_alu instid0(SALU_CYCLE_1)
	s_add_u32 s28, s0, s12
	s_addc_u32 s29, s1, s13
	s_add_u32 s12, s12, 1
	global_load_u8 v2, v3, s[28:29]
	s_addc_u32 s13, s13, 0
	s_waitcnt vmcnt(0)
	v_and_b32_e32 v2, 0xffff, v2
	s_delay_alu instid0(VALU_DEP_1) | instskip(SKIP_3) | instid1(VALU_DEP_1)
	v_lshlrev_b64 v[14:15], s10, v[2:3]
	s_add_u32 s10, s10, 8
	s_addc_u32 s11, s11, 0
	s_cmp_lg_u32 s15, s12
	v_or_b32_e32 v12, v14, v12
	s_delay_alu instid0(VALU_DEP_2)
	v_or_b32_e32 v13, v15, v13
	s_cbranch_scc1 .LBB6_99
.LBB6_100:                              ;   in Loop: Header=BB6_81 Depth=1
	s_mov_b32 s10, 0
	s_mov_b32 s14, 0
	s_branch .LBB6_102
.LBB6_101:                              ;   in Loop: Header=BB6_81 Depth=1
	s_mov_b32 s10, -1
                                        ; implicit-def: $sgpr14
.LBB6_102:                              ;   in Loop: Header=BB6_81 Depth=1
	s_delay_alu instid0(SALU_CYCLE_1)
	s_and_not1_b32 vcc_lo, exec_lo, s10
	s_cbranch_vccnz .LBB6_104
; %bb.103:                              ;   in Loop: Header=BB6_81 Depth=1
	global_load_b64 v[12:13], v3, s[0:1]
	s_add_i32 s14, s15, -8
	s_add_u32 s0, s0, 8
	s_addc_u32 s1, s1, 0
.LBB6_104:                              ;   in Loop: Header=BB6_81 Depth=1
	s_cmp_gt_u32 s14, 7
	s_cbranch_scc1 .LBB6_109
; %bb.105:                              ;   in Loop: Header=BB6_81 Depth=1
	v_mov_b32_e32 v14, 0
	v_mov_b32_e32 v15, 0
	s_cmp_eq_u32 s14, 0
	s_cbranch_scc1 .LBB6_108
; %bb.106:                              ;   in Loop: Header=BB6_81 Depth=1
	s_mov_b64 s[10:11], 0
	s_mov_b64 s[12:13], 0
.LBB6_107:                              ;   Parent Loop BB6_81 Depth=1
                                        ; =>  This Inner Loop Header: Depth=2
	s_delay_alu instid0(SALU_CYCLE_1)
	s_add_u32 s28, s0, s12
	s_addc_u32 s29, s1, s13
	s_add_u32 s12, s12, 1
	global_load_u8 v2, v3, s[28:29]
	s_addc_u32 s13, s13, 0
	s_waitcnt vmcnt(0)
	v_and_b32_e32 v2, 0xffff, v2
	s_delay_alu instid0(VALU_DEP_1) | instskip(SKIP_3) | instid1(VALU_DEP_1)
	v_lshlrev_b64 v[16:17], s10, v[2:3]
	s_add_u32 s10, s10, 8
	s_addc_u32 s11, s11, 0
	s_cmp_lg_u32 s14, s12
	v_or_b32_e32 v14, v16, v14
	s_delay_alu instid0(VALU_DEP_2)
	v_or_b32_e32 v15, v17, v15
	s_cbranch_scc1 .LBB6_107
.LBB6_108:                              ;   in Loop: Header=BB6_81 Depth=1
	s_mov_b32 s10, 0
	s_mov_b32 s15, 0
	s_branch .LBB6_110
.LBB6_109:                              ;   in Loop: Header=BB6_81 Depth=1
	s_mov_b32 s10, -1
                                        ; implicit-def: $vgpr14_vgpr15
                                        ; implicit-def: $sgpr15
.LBB6_110:                              ;   in Loop: Header=BB6_81 Depth=1
	s_delay_alu instid0(SALU_CYCLE_1)
	s_and_not1_b32 vcc_lo, exec_lo, s10
	s_cbranch_vccnz .LBB6_112
; %bb.111:                              ;   in Loop: Header=BB6_81 Depth=1
	global_load_b64 v[14:15], v3, s[0:1]
	s_add_i32 s15, s14, -8
	s_add_u32 s0, s0, 8
	s_addc_u32 s1, s1, 0
.LBB6_112:                              ;   in Loop: Header=BB6_81 Depth=1
	s_cmp_gt_u32 s15, 7
	s_cbranch_scc1 .LBB6_117
; %bb.113:                              ;   in Loop: Header=BB6_81 Depth=1
	v_mov_b32_e32 v16, 0
	v_mov_b32_e32 v17, 0
	s_cmp_eq_u32 s15, 0
	s_cbranch_scc1 .LBB6_116
; %bb.114:                              ;   in Loop: Header=BB6_81 Depth=1
	s_mov_b64 s[10:11], 0
	s_mov_b64 s[12:13], 0
.LBB6_115:                              ;   Parent Loop BB6_81 Depth=1
                                        ; =>  This Inner Loop Header: Depth=2
	s_delay_alu instid0(SALU_CYCLE_1)
	s_add_u32 s28, s0, s12
	s_addc_u32 s29, s1, s13
	s_add_u32 s12, s12, 1
	global_load_u8 v2, v3, s[28:29]
	s_addc_u32 s13, s13, 0
	s_waitcnt vmcnt(0)
	v_and_b32_e32 v2, 0xffff, v2
	s_delay_alu instid0(VALU_DEP_1) | instskip(SKIP_3) | instid1(VALU_DEP_1)
	v_lshlrev_b64 v[18:19], s10, v[2:3]
	s_add_u32 s10, s10, 8
	s_addc_u32 s11, s11, 0
	s_cmp_lg_u32 s15, s12
	v_or_b32_e32 v16, v18, v16
	s_delay_alu instid0(VALU_DEP_2)
	v_or_b32_e32 v17, v19, v17
	s_cbranch_scc1 .LBB6_115
.LBB6_116:                              ;   in Loop: Header=BB6_81 Depth=1
	s_mov_b32 s10, 0
	s_mov_b32 s14, 0
	s_branch .LBB6_118
.LBB6_117:                              ;   in Loop: Header=BB6_81 Depth=1
	s_mov_b32 s10, -1
                                        ; implicit-def: $sgpr14
.LBB6_118:                              ;   in Loop: Header=BB6_81 Depth=1
	s_delay_alu instid0(SALU_CYCLE_1)
	s_and_not1_b32 vcc_lo, exec_lo, s10
	s_cbranch_vccnz .LBB6_120
; %bb.119:                              ;   in Loop: Header=BB6_81 Depth=1
	global_load_b64 v[16:17], v3, s[0:1]
	s_add_i32 s14, s15, -8
	s_add_u32 s0, s0, 8
	s_addc_u32 s1, s1, 0
.LBB6_120:                              ;   in Loop: Header=BB6_81 Depth=1
	s_cmp_gt_u32 s14, 7
	s_cbranch_scc1 .LBB6_125
; %bb.121:                              ;   in Loop: Header=BB6_81 Depth=1
	v_mov_b32_e32 v18, 0
	v_mov_b32_e32 v19, 0
	s_cmp_eq_u32 s14, 0
	s_cbranch_scc1 .LBB6_124
; %bb.122:                              ;   in Loop: Header=BB6_81 Depth=1
	s_mov_b64 s[10:11], 0
	s_mov_b64 s[12:13], 0
.LBB6_123:                              ;   Parent Loop BB6_81 Depth=1
                                        ; =>  This Inner Loop Header: Depth=2
	s_delay_alu instid0(SALU_CYCLE_1)
	s_add_u32 s28, s0, s12
	s_addc_u32 s29, s1, s13
	s_add_u32 s12, s12, 1
	global_load_u8 v2, v3, s[28:29]
	s_addc_u32 s13, s13, 0
	s_waitcnt vmcnt(0)
	v_and_b32_e32 v2, 0xffff, v2
	s_delay_alu instid0(VALU_DEP_1) | instskip(SKIP_3) | instid1(VALU_DEP_1)
	v_lshlrev_b64 v[20:21], s10, v[2:3]
	s_add_u32 s10, s10, 8
	s_addc_u32 s11, s11, 0
	s_cmp_lg_u32 s14, s12
	v_or_b32_e32 v18, v20, v18
	s_delay_alu instid0(VALU_DEP_2)
	v_or_b32_e32 v19, v21, v19
	s_cbranch_scc1 .LBB6_123
.LBB6_124:                              ;   in Loop: Header=BB6_81 Depth=1
	s_mov_b32 s10, 0
	s_mov_b32 s15, 0
	s_branch .LBB6_126
.LBB6_125:                              ;   in Loop: Header=BB6_81 Depth=1
	s_mov_b32 s10, -1
                                        ; implicit-def: $vgpr18_vgpr19
                                        ; implicit-def: $sgpr15
.LBB6_126:                              ;   in Loop: Header=BB6_81 Depth=1
	s_delay_alu instid0(SALU_CYCLE_1)
	s_and_not1_b32 vcc_lo, exec_lo, s10
	s_cbranch_vccnz .LBB6_128
; %bb.127:                              ;   in Loop: Header=BB6_81 Depth=1
	global_load_b64 v[18:19], v3, s[0:1]
	s_add_i32 s15, s14, -8
	s_add_u32 s0, s0, 8
	s_addc_u32 s1, s1, 0
.LBB6_128:                              ;   in Loop: Header=BB6_81 Depth=1
	s_cmp_gt_u32 s15, 7
	s_cbranch_scc1 .LBB6_133
; %bb.129:                              ;   in Loop: Header=BB6_81 Depth=1
	v_mov_b32_e32 v20, 0
	v_mov_b32_e32 v21, 0
	s_cmp_eq_u32 s15, 0
	s_cbranch_scc1 .LBB6_132
; %bb.130:                              ;   in Loop: Header=BB6_81 Depth=1
	s_mov_b64 s[10:11], 0
	s_mov_b64 s[12:13], s[0:1]
.LBB6_131:                              ;   Parent Loop BB6_81 Depth=1
                                        ; =>  This Inner Loop Header: Depth=2
	global_load_u8 v2, v3, s[12:13]
	s_add_i32 s15, s15, -1
	s_waitcnt vmcnt(0)
	v_and_b32_e32 v2, 0xffff, v2
	s_delay_alu instid0(VALU_DEP_1)
	v_lshlrev_b64 v[22:23], s10, v[2:3]
	s_add_u32 s10, s10, 8
	s_addc_u32 s11, s11, 0
	s_add_u32 s12, s12, 1
	s_addc_u32 s13, s13, 0
	s_cmp_lg_u32 s15, 0
	v_or_b32_e32 v20, v22, v20
	v_or_b32_e32 v21, v23, v21
	s_cbranch_scc1 .LBB6_131
.LBB6_132:                              ;   in Loop: Header=BB6_81 Depth=1
	s_mov_b32 s10, 0
	s_branch .LBB6_134
.LBB6_133:                              ;   in Loop: Header=BB6_81 Depth=1
	s_mov_b32 s10, -1
.LBB6_134:                              ;   in Loop: Header=BB6_81 Depth=1
	s_delay_alu instid0(SALU_CYCLE_1)
	s_and_not1_b32 vcc_lo, exec_lo, s10
	s_cbranch_vccnz .LBB6_136
; %bb.135:                              ;   in Loop: Header=BB6_81 Depth=1
	global_load_b64 v[20:21], v3, s[0:1]
.LBB6_136:                              ;   in Loop: Header=BB6_81 Depth=1
	v_readfirstlane_b32 s0, v29
	v_mov_b32_e32 v26, 0
	v_mov_b32_e32 v27, 0
	s_delay_alu instid0(VALU_DEP_3) | instskip(NEXT) | instid1(VALU_DEP_1)
	v_cmp_eq_u32_e64 s0, s0, v29
	s_and_saveexec_b32 s1, s0
	s_cbranch_execz .LBB6_142
; %bb.137:                              ;   in Loop: Header=BB6_81 Depth=1
	global_load_b64 v[24:25], v3, s[2:3] offset:24 glc
	s_waitcnt vmcnt(0)
	buffer_gl1_inv
	buffer_gl0_inv
	s_clause 0x1
	global_load_b64 v[22:23], v3, s[2:3] offset:40
	global_load_b64 v[26:27], v3, s[2:3]
	s_mov_b32 s10, exec_lo
	s_waitcnt vmcnt(1)
	v_and_b32_e32 v2, v23, v25
	v_and_b32_e32 v22, v22, v24
	s_delay_alu instid0(VALU_DEP_2) | instskip(NEXT) | instid1(VALU_DEP_2)
	v_mul_lo_u32 v2, v2, 24
	v_mul_hi_u32 v23, v22, 24
	v_mul_lo_u32 v22, v22, 24
	s_delay_alu instid0(VALU_DEP_2) | instskip(SKIP_1) | instid1(VALU_DEP_2)
	v_add_nc_u32_e32 v2, v23, v2
	s_waitcnt vmcnt(0)
	v_add_co_u32 v22, vcc_lo, v26, v22
	s_delay_alu instid0(VALU_DEP_2)
	v_add_co_ci_u32_e32 v23, vcc_lo, v27, v2, vcc_lo
	global_load_b64 v[22:23], v[22:23], off glc
	s_waitcnt vmcnt(0)
	global_atomic_cmpswap_b64 v[26:27], v3, v[22:25], s[2:3] offset:24 glc
	s_waitcnt vmcnt(0)
	buffer_gl1_inv
	buffer_gl0_inv
	v_cmpx_ne_u64_e64 v[26:27], v[24:25]
	s_cbranch_execz .LBB6_141
; %bb.138:                              ;   in Loop: Header=BB6_81 Depth=1
	s_mov_b32 s11, 0
	.p2align	6
.LBB6_139:                              ;   Parent Loop BB6_81 Depth=1
                                        ; =>  This Inner Loop Header: Depth=2
	s_sleep 1
	s_clause 0x1
	global_load_b64 v[22:23], v3, s[2:3] offset:40
	global_load_b64 v[30:31], v3, s[2:3]
	v_dual_mov_b32 v24, v26 :: v_dual_mov_b32 v25, v27
	s_waitcnt vmcnt(1)
	s_delay_alu instid0(VALU_DEP_1) | instskip(SKIP_1) | instid1(VALU_DEP_1)
	v_and_b32_e32 v2, v22, v24
	s_waitcnt vmcnt(0)
	v_mad_u64_u32 v[26:27], null, v2, 24, v[30:31]
	v_and_b32_e32 v30, v23, v25
	s_delay_alu instid0(VALU_DEP_2) | instskip(NEXT) | instid1(VALU_DEP_1)
	v_mov_b32_e32 v2, v27
	v_mad_u64_u32 v[22:23], null, v30, 24, v[2:3]
	s_delay_alu instid0(VALU_DEP_1)
	v_mov_b32_e32 v27, v22
	global_load_b64 v[22:23], v[26:27], off glc
	s_waitcnt vmcnt(0)
	global_atomic_cmpswap_b64 v[26:27], v3, v[22:25], s[2:3] offset:24 glc
	s_waitcnt vmcnt(0)
	buffer_gl1_inv
	buffer_gl0_inv
	v_cmp_eq_u64_e32 vcc_lo, v[26:27], v[24:25]
	s_or_b32 s11, vcc_lo, s11
	s_delay_alu instid0(SALU_CYCLE_1)
	s_and_not1_b32 exec_lo, exec_lo, s11
	s_cbranch_execnz .LBB6_139
; %bb.140:                              ;   in Loop: Header=BB6_81 Depth=1
	s_or_b32 exec_lo, exec_lo, s11
.LBB6_141:                              ;   in Loop: Header=BB6_81 Depth=1
	s_delay_alu instid0(SALU_CYCLE_1)
	s_or_b32 exec_lo, exec_lo, s10
.LBB6_142:                              ;   in Loop: Header=BB6_81 Depth=1
	s_delay_alu instid0(SALU_CYCLE_1)
	s_or_b32 exec_lo, exec_lo, s1
	s_clause 0x1
	global_load_b64 v[30:31], v3, s[2:3] offset:40
	global_load_b128 v[22:25], v3, s[2:3]
	v_readfirstlane_b32 s10, v26
	v_readfirstlane_b32 s11, v27
	s_mov_b32 s1, exec_lo
	s_waitcnt vmcnt(1)
	v_readfirstlane_b32 s12, v30
	v_readfirstlane_b32 s13, v31
	s_delay_alu instid0(VALU_DEP_1) | instskip(NEXT) | instid1(SALU_CYCLE_1)
	s_and_b64 s[12:13], s[10:11], s[12:13]
	s_mul_i32 s14, s13, 24
	s_mul_hi_u32 s15, s12, 24
	s_mul_i32 s16, s12, 24
	s_add_i32 s15, s15, s14
	s_waitcnt vmcnt(0)
	v_add_co_u32 v26, vcc_lo, v22, s16
	v_add_co_ci_u32_e32 v27, vcc_lo, s15, v23, vcc_lo
	s_and_saveexec_b32 s14, s0
	s_cbranch_execz .LBB6_144
; %bb.143:                              ;   in Loop: Header=BB6_81 Depth=1
	v_mov_b32_e32 v2, s1
	global_store_b128 v[26:27], v[2:5], off offset:8
.LBB6_144:                              ;   in Loop: Header=BB6_81 Depth=1
	s_or_b32 exec_lo, exec_lo, s14
	s_lshl_b64 s[12:13], s[12:13], 12
	v_or_b32_e32 v2, 2, v6
	v_add_co_u32 v24, vcc_lo, v24, s12
	v_add_co_ci_u32_e32 v25, vcc_lo, s13, v25, vcc_lo
	v_cmp_gt_u64_e64 vcc_lo, s[6:7], 56
	s_lshl_b32 s1, s8, 2
	s_delay_alu instid0(VALU_DEP_3) | instskip(SKIP_4) | instid1(VALU_DEP_1)
	v_readfirstlane_b32 s12, v24
	s_add_i32 s1, s1, 28
	v_readfirstlane_b32 s13, v25
	s_and_b32 s1, s1, 0x1e0
	v_cndmask_b32_e32 v2, v2, v6, vcc_lo
	v_and_or_b32 v6, 0xffffff1f, v2, s1
	s_clause 0x3
	global_store_b128 v28, v[6:9], s[12:13]
	global_store_b128 v28, v[10:13], s[12:13] offset:16
	global_store_b128 v28, v[14:17], s[12:13] offset:32
	;; [unrolled: 1-line block ×3, first 2 shown]
	s_and_saveexec_b32 s1, s0
	s_cbranch_execz .LBB6_152
; %bb.145:                              ;   in Loop: Header=BB6_81 Depth=1
	s_clause 0x1
	global_load_b64 v[14:15], v3, s[2:3] offset:32 glc
	global_load_b64 v[6:7], v3, s[2:3] offset:40
	v_dual_mov_b32 v12, s10 :: v_dual_mov_b32 v13, s11
	s_waitcnt vmcnt(0)
	v_readfirstlane_b32 s12, v6
	v_readfirstlane_b32 s13, v7
	s_delay_alu instid0(VALU_DEP_1) | instskip(NEXT) | instid1(SALU_CYCLE_1)
	s_and_b64 s[12:13], s[12:13], s[10:11]
	s_mul_i32 s13, s13, 24
	s_mul_hi_u32 s14, s12, 24
	s_mul_i32 s12, s12, 24
	s_add_i32 s14, s14, s13
	v_add_co_u32 v10, vcc_lo, v22, s12
	v_add_co_ci_u32_e32 v11, vcc_lo, s14, v23, vcc_lo
	s_mov_b32 s12, exec_lo
	global_store_b64 v[10:11], v[14:15], off
	s_waitcnt_vscnt null, 0x0
	global_atomic_cmpswap_b64 v[8:9], v3, v[12:15], s[2:3] offset:32 glc
	s_waitcnt vmcnt(0)
	v_cmpx_ne_u64_e64 v[8:9], v[14:15]
	s_cbranch_execz .LBB6_148
; %bb.146:                              ;   in Loop: Header=BB6_81 Depth=1
	s_mov_b32 s13, 0
.LBB6_147:                              ;   Parent Loop BB6_81 Depth=1
                                        ; =>  This Inner Loop Header: Depth=2
	v_dual_mov_b32 v6, s10 :: v_dual_mov_b32 v7, s11
	s_sleep 1
	global_store_b64 v[10:11], v[8:9], off
	s_waitcnt_vscnt null, 0x0
	global_atomic_cmpswap_b64 v[6:7], v3, v[6:9], s[2:3] offset:32 glc
	s_waitcnt vmcnt(0)
	v_cmp_eq_u64_e32 vcc_lo, v[6:7], v[8:9]
	v_dual_mov_b32 v9, v7 :: v_dual_mov_b32 v8, v6
	s_or_b32 s13, vcc_lo, s13
	s_delay_alu instid0(SALU_CYCLE_1)
	s_and_not1_b32 exec_lo, exec_lo, s13
	s_cbranch_execnz .LBB6_147
.LBB6_148:                              ;   in Loop: Header=BB6_81 Depth=1
	s_or_b32 exec_lo, exec_lo, s12
	global_load_b64 v[6:7], v3, s[2:3] offset:16
	s_mov_b32 s13, exec_lo
	s_mov_b32 s12, exec_lo
	v_mbcnt_lo_u32_b32 v2, s13, 0
	s_delay_alu instid0(VALU_DEP_1)
	v_cmpx_eq_u32_e32 0, v2
	s_cbranch_execz .LBB6_150
; %bb.149:                              ;   in Loop: Header=BB6_81 Depth=1
	s_bcnt1_i32_b32 s13, s13
	s_delay_alu instid0(SALU_CYCLE_1)
	v_mov_b32_e32 v2, s13
	s_waitcnt vmcnt(0)
	global_atomic_add_u64 v[6:7], v[2:3], off offset:8
.LBB6_150:                              ;   in Loop: Header=BB6_81 Depth=1
	s_or_b32 exec_lo, exec_lo, s12
	s_waitcnt vmcnt(0)
	global_load_b64 v[8:9], v[6:7], off offset:16
	s_waitcnt vmcnt(0)
	v_cmp_eq_u64_e32 vcc_lo, 0, v[8:9]
	s_cbranch_vccnz .LBB6_152
; %bb.151:                              ;   in Loop: Header=BB6_81 Depth=1
	global_load_b32 v2, v[6:7], off offset:24
	s_waitcnt vmcnt(0)
	v_and_b32_e32 v6, 0xffffff, v2
	s_waitcnt_vscnt null, 0x0
	global_store_b64 v[8:9], v[2:3], off
	v_readfirstlane_b32 m0, v6
	s_sendmsg sendmsg(MSG_INTERRUPT)
.LBB6_152:                              ;   in Loop: Header=BB6_81 Depth=1
	s_or_b32 exec_lo, exec_lo, s1
	v_add_co_u32 v6, vcc_lo, v24, v28
	v_add_co_ci_u32_e32 v7, vcc_lo, 0, v25, vcc_lo
	s_branch .LBB6_154
	.p2align	6
.LBB6_153:                              ;   in Loop: Header=BB6_81 Depth=1
	s_branch .LBB6_158
.LBB6_154:                              ;   Parent Loop BB6_81 Depth=1
                                        ; =>  This Inner Loop Header: Depth=2
	v_mov_b32_e32 v2, 1
	s_and_saveexec_b32 s1, s0
	s_cbranch_execz .LBB6_156
; %bb.155:                              ;   in Loop: Header=BB6_154 Depth=2
	global_load_b32 v2, v[26:27], off offset:20 glc
	s_waitcnt vmcnt(0)
	buffer_gl1_inv
	buffer_gl0_inv
	v_and_b32_e32 v2, 1, v2
.LBB6_156:                              ;   in Loop: Header=BB6_154 Depth=2
	s_or_b32 exec_lo, exec_lo, s1
	s_delay_alu instid0(VALU_DEP_1) | instskip(NEXT) | instid1(VALU_DEP_1)
	v_readfirstlane_b32 s1, v2
	s_cmp_eq_u32 s1, 0
	s_cbranch_scc1 .LBB6_153
; %bb.157:                              ;   in Loop: Header=BB6_154 Depth=2
	s_sleep 1
	s_cbranch_execnz .LBB6_154
.LBB6_158:                              ;   in Loop: Header=BB6_81 Depth=1
	global_load_b128 v[6:9], v[6:7], off
	s_and_saveexec_b32 s1, s0
	s_cbranch_execz .LBB6_80
; %bb.159:                              ;   in Loop: Header=BB6_81 Depth=1
	s_clause 0x2
	global_load_b64 v[10:11], v3, s[2:3] offset:40
	global_load_b64 v[14:15], v3, s[2:3] offset:24 glc
	global_load_b64 v[12:13], v3, s[2:3]
	s_waitcnt vmcnt(2)
	v_add_co_u32 v2, vcc_lo, v10, 1
	v_add_co_ci_u32_e32 v16, vcc_lo, 0, v11, vcc_lo
	s_delay_alu instid0(VALU_DEP_2) | instskip(NEXT) | instid1(VALU_DEP_2)
	v_add_co_u32 v8, vcc_lo, v2, s10
	v_add_co_ci_u32_e32 v9, vcc_lo, s11, v16, vcc_lo
	s_delay_alu instid0(VALU_DEP_1) | instskip(SKIP_1) | instid1(VALU_DEP_1)
	v_cmp_eq_u64_e32 vcc_lo, 0, v[8:9]
	v_dual_cndmask_b32 v9, v9, v16 :: v_dual_cndmask_b32 v8, v8, v2
	v_and_b32_e32 v2, v9, v11
	s_delay_alu instid0(VALU_DEP_2) | instskip(NEXT) | instid1(VALU_DEP_2)
	v_and_b32_e32 v10, v8, v10
	v_mul_lo_u32 v2, v2, 24
	s_delay_alu instid0(VALU_DEP_2) | instskip(SKIP_1) | instid1(VALU_DEP_2)
	v_mul_hi_u32 v11, v10, 24
	v_mul_lo_u32 v10, v10, 24
	v_add_nc_u32_e32 v2, v11, v2
	s_waitcnt vmcnt(1)
	v_mov_b32_e32 v11, v15
	s_waitcnt vmcnt(0)
	s_delay_alu instid0(VALU_DEP_3)
	v_add_co_u32 v12, vcc_lo, v12, v10
	v_mov_b32_e32 v10, v14
	v_add_co_ci_u32_e32 v13, vcc_lo, v13, v2, vcc_lo
	global_store_b64 v[12:13], v[14:15], off
	s_waitcnt_vscnt null, 0x0
	global_atomic_cmpswap_b64 v[10:11], v3, v[8:11], s[2:3] offset:24 glc
	s_waitcnt vmcnt(0)
	v_cmp_ne_u64_e32 vcc_lo, v[10:11], v[14:15]
	s_and_b32 exec_lo, exec_lo, vcc_lo
	s_cbranch_execz .LBB6_80
; %bb.160:                              ;   in Loop: Header=BB6_81 Depth=1
	s_mov_b32 s0, 0
.LBB6_161:                              ;   Parent Loop BB6_81 Depth=1
                                        ; =>  This Inner Loop Header: Depth=2
	s_sleep 1
	global_store_b64 v[12:13], v[10:11], off
	s_waitcnt_vscnt null, 0x0
	global_atomic_cmpswap_b64 v[14:15], v3, v[8:11], s[2:3] offset:24 glc
	s_waitcnt vmcnt(0)
	v_cmp_eq_u64_e32 vcc_lo, v[14:15], v[10:11]
	v_dual_mov_b32 v10, v14 :: v_dual_mov_b32 v11, v15
	s_or_b32 s0, vcc_lo, s0
	s_delay_alu instid0(SALU_CYCLE_1)
	s_and_not1_b32 exec_lo, exec_lo, s0
	s_cbranch_execnz .LBB6_161
	s_branch .LBB6_80
.LBB6_162:
	s_or_saveexec_b32 s2, s17
	s_mov_b32 s28, 0
	s_xor_b32 exec_lo, exec_lo, s2
	s_cbranch_execz .LBB6_413
.LBB6_163:
	flat_load_b32 v0, v[58:59]
	s_mov_b32 s0, 0
	s_mov_b32 s4, -1
	s_mov_b32 s5, s1
	s_mov_b32 s3, exec_lo
                                        ; implicit-def: $vgpr64
                                        ; implicit-def: $vgpr53_vgpr54
	v_mov_b32_e32 v47, 0
	scratch_store_b32 off, v47, s33 offset:148
	s_waitcnt vmcnt(0) lgkmcnt(0)
	v_add_nc_u32_e32 v0, v0, v46
	s_delay_alu instid0(VALU_DEP_1)
	v_cmpx_gt_i32_e32 0x2001, v0
	s_cbranch_execz .LBB6_169
; %bb.164:
	flat_load_b32 v4, v[66:67]
	v_ashrrev_i32_e32 v1, 31, v0
	v_lshlrev_b64 v[5:6], 2, v[46:47]
	v_add_nc_u32_e32 v7, v0, v46
	s_mov_b32 s0, -1
	s_mov_b32 s5, s1
	v_lshlrev_b64 v[1:2], 2, v[0:1]
	s_mov_b32 s4, exec_lo
                                        ; implicit-def: $vgpr64
	s_delay_alu instid0(VALU_DEP_1) | instskip(NEXT) | instid1(VALU_DEP_2)
	v_add_co_u32 v1, vcc_lo, v58, v1
	v_add_co_ci_u32_e32 v2, vcc_lo, v59, v2, vcc_lo
	s_delay_alu instid0(VALU_DEP_2) | instskip(NEXT) | instid1(VALU_DEP_2)
	v_sub_co_u32 v3, vcc_lo, v1, v5
	v_sub_co_ci_u32_e32 v5, vcc_lo, v2, v6, vcc_lo
	s_delay_alu instid0(VALU_DEP_2) | instskip(NEXT) | instid1(VALU_DEP_2)
	v_add_co_u32 v53, vcc_lo, v3, 4
	v_add_co_ci_u32_e32 v54, vcc_lo, 0, v5, vcc_lo
	flat_store_b32 v[58:59], v0
	s_clause 0x1
	scratch_store_b64 off, v[53:54], s33 offset:152
	scratch_store_b32 off, v47, s33 offset:164
	v_cmpx_gt_i32_e32 0x2001, v7
	s_cbranch_execz .LBB6_168
; %bb.165:
	v_ashrrev_i32_e32 v47, 31, v46
	v_sub_co_u32 v5, s0, 0, v46
	s_delay_alu instid0(VALU_DEP_1) | instskip(NEXT) | instid1(VALU_DEP_3)
	v_sub_co_ci_u32_e64 v6, null, 0, 0, s0
	v_lshlrev_b64 v[8:9], 2, v[46:47]
	s_add_i32 s0, s33, 0xa0
	s_mov_b32 s5, 0
	s_delay_alu instid0(VALU_DEP_2)
	v_lshlrev_b64 v[5:6], 2, v[5:6]
	s_mov_b32 s6, 0
	flat_store_b32 v[58:59], v7
	v_add_co_u32 v0, vcc_lo, v1, v8
	v_add_co_ci_u32_e32 v1, vcc_lo, v2, v9, vcc_lo
	v_mov_b32_e32 v2, v62
	s_delay_alu instid0(VALU_DEP_3) | instskip(NEXT) | instid1(VALU_DEP_3)
	v_add_co_u32 v0, vcc_lo, v0, v5
	v_add_co_ci_u32_e32 v1, vcc_lo, v1, v6, vcc_lo
	s_waitcnt vmcnt(0) lgkmcnt(2)
	v_not_b32_e32 v5, v4
	s_delay_alu instid0(VALU_DEP_3) | instskip(NEXT) | instid1(VALU_DEP_3)
	v_add_co_u32 v0, vcc_lo, v0, 4
	v_add_co_ci_u32_e32 v1, vcc_lo, 0, v1, vcc_lo
	v_dual_mov_b32 v6, s0 :: v_dual_mov_b32 v3, v63
	scratch_store_b64 off, v[0:1], s33 offset:168
	s_set_inst_prefetch_distance 0x1
.LBB6_166:                              ; =>This Inner Loop Header: Depth=1
	flat_load_b32 v10, v[2:3]
	s_add_i32 s0, s33, 0x90
	s_add_i32 s6, s6, 1
	s_waitcnt vmcnt(0) lgkmcnt(0)
	v_and_b32_e32 v7, v10, v4
	s_delay_alu instid0(VALU_DEP_1)
	v_cmp_eq_u32_e32 vcc_lo, v7, v4
	v_cndmask_b32_e32 v12, v0, v53, vcc_lo
	v_cndmask_b32_e64 v11, v6, s0, vcc_lo
	v_dual_cndmask_b32 v13, -1, v5 :: v_dual_cndmask_b32 v14, v1, v54
	scratch_load_b32 v7, v11, off offset:4
	v_and_b32_e32 v10, v13, v10
	s_waitcnt vmcnt(0)
	v_ashrrev_i32_e32 v8, 31, v7
	s_delay_alu instid0(VALU_DEP_1)
	v_lshlrev_b64 v[8:9], 2, v[7:8]
	v_add_nc_u32_e32 v7, 1, v7
	scratch_store_b32 v11, v7, off offset:4
	v_add_co_u32 v8, vcc_lo, v12, v8
	v_add_co_ci_u32_e32 v9, vcc_lo, v14, v9, vcc_lo
	v_add_co_u32 v2, vcc_lo, v2, 4
	v_add_co_ci_u32_e32 v3, vcc_lo, 0, v3, vcc_lo
	flat_store_b32 v[8:9], v10
	flat_load_b32 v46, v[60:61] offset:4
	s_waitcnt vmcnt(0) lgkmcnt(0)
	v_cmp_ge_i32_e64 s0, s6, v46
	s_delay_alu instid0(VALU_DEP_1) | instskip(NEXT) | instid1(SALU_CYCLE_1)
	s_or_b32 s5, s0, s5
	s_and_not1_b32 exec_lo, exec_lo, s5
	s_cbranch_execnz .LBB6_166
; %bb.167:
	s_set_inst_prefetch_distance 0x2
	s_or_b32 exec_lo, exec_lo, s5
	scratch_load_b32 v64, off, s33 offset:148
	s_xor_b32 s0, exec_lo, -1
	s_or_b32 s5, s1, exec_lo
.LBB6_168:
	s_or_b32 exec_lo, exec_lo, s4
	s_delay_alu instid0(SALU_CYCLE_1)
	s_and_not1_b32 s6, s1, exec_lo
	s_and_b32 s5, s5, exec_lo
	s_xor_b32 s4, exec_lo, -1
	s_and_b32 s0, s0, exec_lo
	s_or_b32 s5, s6, s5
.LBB6_169:
	s_or_b32 exec_lo, exec_lo, s3
	s_delay_alu instid0(SALU_CYCLE_1)
	s_and_not1_b32 s1, s1, exec_lo
	s_and_b32 s3, s5, exec_lo
	s_and_b32 s28, s4, exec_lo
	;; [unrolled: 1-line block ×3, first 2 shown]
	s_or_b32 s1, s1, s3
	s_or_b32 exec_lo, exec_lo, s2
                                        ; implicit-def: $vgpr40
	s_and_saveexec_b32 s29, s1
	s_cbranch_execz .LBB6_1593
	s_branch .LBB6_414
.LBB6_170:
	s_mov_b32 s0, 0
	s_branch .LBB6_172
.LBB6_171:
	s_mov_b32 s0, -1
.LBB6_172:
	s_delay_alu instid0(SALU_CYCLE_1)
	s_and_b32 vcc_lo, exec_lo, s0
	s_cbranch_vccz .LBB6_200
; %bb.173:
	v_readfirstlane_b32 s0, v29
	s_waitcnt vmcnt(0)
	v_mov_b32_e32 v8, 0
	v_mov_b32_e32 v9, 0
	s_delay_alu instid0(VALU_DEP_3) | instskip(NEXT) | instid1(VALU_DEP_1)
	v_cmp_eq_u32_e64 s0, s0, v29
	s_and_saveexec_b32 s1, s0
	s_cbranch_execz .LBB6_179
; %bb.174:
	v_mov_b32_e32 v2, 0
	s_mov_b32 s4, exec_lo
	global_load_b64 v[5:6], v2, s[2:3] offset:24 glc
	s_waitcnt vmcnt(0)
	buffer_gl1_inv
	buffer_gl0_inv
	s_clause 0x1
	global_load_b64 v[3:4], v2, s[2:3] offset:40
	global_load_b64 v[7:8], v2, s[2:3]
	s_waitcnt vmcnt(1)
	v_and_b32_e32 v3, v3, v5
	v_and_b32_e32 v4, v4, v6
	s_delay_alu instid0(VALU_DEP_2) | instskip(NEXT) | instid1(VALU_DEP_2)
	v_mul_hi_u32 v9, v3, 24
	v_mul_lo_u32 v4, v4, 24
	v_mul_lo_u32 v3, v3, 24
	s_delay_alu instid0(VALU_DEP_2) | instskip(SKIP_1) | instid1(VALU_DEP_2)
	v_add_nc_u32_e32 v4, v9, v4
	s_waitcnt vmcnt(0)
	v_add_co_u32 v3, vcc_lo, v7, v3
	s_delay_alu instid0(VALU_DEP_2)
	v_add_co_ci_u32_e32 v4, vcc_lo, v8, v4, vcc_lo
	global_load_b64 v[3:4], v[3:4], off glc
	s_waitcnt vmcnt(0)
	global_atomic_cmpswap_b64 v[8:9], v2, v[3:6], s[2:3] offset:24 glc
	s_waitcnt vmcnt(0)
	buffer_gl1_inv
	buffer_gl0_inv
	v_cmpx_ne_u64_e64 v[8:9], v[5:6]
	s_cbranch_execz .LBB6_178
; %bb.175:
	s_mov_b32 s5, 0
.LBB6_176:                              ; =>This Inner Loop Header: Depth=1
	s_sleep 1
	s_clause 0x1
	global_load_b64 v[3:4], v2, s[2:3] offset:40
	global_load_b64 v[10:11], v2, s[2:3]
	v_dual_mov_b32 v5, v8 :: v_dual_mov_b32 v6, v9
	s_waitcnt vmcnt(1)
	s_delay_alu instid0(VALU_DEP_1) | instskip(NEXT) | instid1(VALU_DEP_2)
	v_and_b32_e32 v3, v3, v5
	v_and_b32_e32 v4, v4, v6
	s_waitcnt vmcnt(0)
	s_delay_alu instid0(VALU_DEP_2) | instskip(NEXT) | instid1(VALU_DEP_1)
	v_mad_u64_u32 v[7:8], null, v3, 24, v[10:11]
	v_mov_b32_e32 v3, v8
	s_delay_alu instid0(VALU_DEP_1)
	v_mad_u64_u32 v[8:9], null, v4, 24, v[3:4]
	global_load_b64 v[3:4], v[7:8], off glc
	s_waitcnt vmcnt(0)
	global_atomic_cmpswap_b64 v[8:9], v2, v[3:6], s[2:3] offset:24 glc
	s_waitcnt vmcnt(0)
	buffer_gl1_inv
	buffer_gl0_inv
	v_cmp_eq_u64_e32 vcc_lo, v[8:9], v[5:6]
	s_or_b32 s5, vcc_lo, s5
	s_delay_alu instid0(SALU_CYCLE_1)
	s_and_not1_b32 exec_lo, exec_lo, s5
	s_cbranch_execnz .LBB6_176
; %bb.177:
	s_or_b32 exec_lo, exec_lo, s5
.LBB6_178:
	s_delay_alu instid0(SALU_CYCLE_1)
	s_or_b32 exec_lo, exec_lo, s4
.LBB6_179:
	s_delay_alu instid0(SALU_CYCLE_1)
	s_or_b32 exec_lo, exec_lo, s1
	v_mov_b32_e32 v2, 0
	v_readfirstlane_b32 s4, v8
	v_readfirstlane_b32 s5, v9
	s_mov_b32 s1, exec_lo
	s_clause 0x1
	global_load_b64 v[10:11], v2, s[2:3] offset:40
	global_load_b128 v[4:7], v2, s[2:3]
	s_waitcnt vmcnt(1)
	v_readfirstlane_b32 s6, v10
	v_readfirstlane_b32 s7, v11
	s_delay_alu instid0(VALU_DEP_1) | instskip(NEXT) | instid1(SALU_CYCLE_1)
	s_and_b64 s[6:7], s[4:5], s[6:7]
	s_mul_i32 s8, s7, 24
	s_mul_hi_u32 s9, s6, 24
	s_mul_i32 s10, s6, 24
	s_add_i32 s9, s9, s8
	s_waitcnt vmcnt(0)
	v_add_co_u32 v8, vcc_lo, v4, s10
	v_add_co_ci_u32_e32 v9, vcc_lo, s9, v5, vcc_lo
	s_and_saveexec_b32 s8, s0
	s_cbranch_execz .LBB6_181
; %bb.180:
	v_dual_mov_b32 v10, s1 :: v_dual_mov_b32 v11, v2
	v_dual_mov_b32 v12, 2 :: v_dual_mov_b32 v13, 1
	global_store_b128 v[8:9], v[10:13], off offset:8
.LBB6_181:
	s_or_b32 exec_lo, exec_lo, s8
	s_lshl_b64 s[6:7], s[6:7], 12
	s_mov_b32 s8, 0
	v_add_co_u32 v6, vcc_lo, v6, s6
	v_add_co_ci_u32_e32 v7, vcc_lo, s7, v7, vcc_lo
	s_mov_b32 s11, s8
	s_mov_b32 s9, s8
	;; [unrolled: 1-line block ×3, first 2 shown]
	v_and_or_b32 v0, 0xffffff1d, v0, 34
	v_mov_b32_e32 v3, v2
	v_readfirstlane_b32 s6, v6
	v_readfirstlane_b32 s7, v7
	v_dual_mov_b32 v13, s11 :: v_dual_mov_b32 v10, s8
	v_dual_mov_b32 v12, s10 :: v_dual_mov_b32 v11, s9
	s_clause 0x3
	global_store_b128 v28, v[0:3], s[6:7]
	global_store_b128 v28, v[10:13], s[6:7] offset:16
	global_store_b128 v28, v[10:13], s[6:7] offset:32
	global_store_b128 v28, v[10:13], s[6:7] offset:48
	s_and_saveexec_b32 s1, s0
	s_cbranch_execz .LBB6_189
; %bb.182:
	v_dual_mov_b32 v6, 0 :: v_dual_mov_b32 v11, s5
	v_mov_b32_e32 v10, s4
	s_clause 0x1
	global_load_b64 v[12:13], v6, s[2:3] offset:32 glc
	global_load_b64 v[0:1], v6, s[2:3] offset:40
	s_waitcnt vmcnt(0)
	v_readfirstlane_b32 s6, v0
	v_readfirstlane_b32 s7, v1
	s_delay_alu instid0(VALU_DEP_1) | instskip(NEXT) | instid1(SALU_CYCLE_1)
	s_and_b64 s[6:7], s[6:7], s[4:5]
	s_mul_i32 s7, s7, 24
	s_mul_hi_u32 s8, s6, 24
	s_mul_i32 s6, s6, 24
	s_add_i32 s8, s8, s7
	v_add_co_u32 v4, vcc_lo, v4, s6
	v_add_co_ci_u32_e32 v5, vcc_lo, s8, v5, vcc_lo
	s_mov_b32 s6, exec_lo
	global_store_b64 v[4:5], v[12:13], off
	s_waitcnt_vscnt null, 0x0
	global_atomic_cmpswap_b64 v[2:3], v6, v[10:13], s[2:3] offset:32 glc
	s_waitcnt vmcnt(0)
	v_cmpx_ne_u64_e64 v[2:3], v[12:13]
	s_cbranch_execz .LBB6_185
; %bb.183:
	s_mov_b32 s7, 0
.LBB6_184:                              ; =>This Inner Loop Header: Depth=1
	v_dual_mov_b32 v0, s4 :: v_dual_mov_b32 v1, s5
	s_sleep 1
	global_store_b64 v[4:5], v[2:3], off
	s_waitcnt_vscnt null, 0x0
	global_atomic_cmpswap_b64 v[0:1], v6, v[0:3], s[2:3] offset:32 glc
	s_waitcnt vmcnt(0)
	v_cmp_eq_u64_e32 vcc_lo, v[0:1], v[2:3]
	v_dual_mov_b32 v3, v1 :: v_dual_mov_b32 v2, v0
	s_or_b32 s7, vcc_lo, s7
	s_delay_alu instid0(SALU_CYCLE_1)
	s_and_not1_b32 exec_lo, exec_lo, s7
	s_cbranch_execnz .LBB6_184
.LBB6_185:
	s_or_b32 exec_lo, exec_lo, s6
	v_mov_b32_e32 v3, 0
	s_mov_b32 s7, exec_lo
	s_mov_b32 s6, exec_lo
	v_mbcnt_lo_u32_b32 v2, s7, 0
	global_load_b64 v[0:1], v3, s[2:3] offset:16
	v_cmpx_eq_u32_e32 0, v2
	s_cbranch_execz .LBB6_187
; %bb.186:
	s_bcnt1_i32_b32 s7, s7
	s_delay_alu instid0(SALU_CYCLE_1)
	v_mov_b32_e32 v2, s7
	s_waitcnt vmcnt(0)
	global_atomic_add_u64 v[0:1], v[2:3], off offset:8
.LBB6_187:
	s_or_b32 exec_lo, exec_lo, s6
	s_waitcnt vmcnt(0)
	global_load_b64 v[2:3], v[0:1], off offset:16
	s_waitcnt vmcnt(0)
	v_cmp_eq_u64_e32 vcc_lo, 0, v[2:3]
	s_cbranch_vccnz .LBB6_189
; %bb.188:
	global_load_b32 v0, v[0:1], off offset:24
	s_waitcnt vmcnt(0)
	v_dual_mov_b32 v1, 0 :: v_dual_and_b32 v4, 0xffffff, v0
	s_waitcnt_vscnt null, 0x0
	global_store_b64 v[2:3], v[0:1], off
	v_readfirstlane_b32 m0, v4
	s_sendmsg sendmsg(MSG_INTERRUPT)
.LBB6_189:
	s_or_b32 exec_lo, exec_lo, s1
	s_branch .LBB6_191
.LBB6_190:
	s_branch .LBB6_195
.LBB6_191:                              ; =>This Inner Loop Header: Depth=1
	v_mov_b32_e32 v0, 1
	s_and_saveexec_b32 s1, s0
	s_cbranch_execz .LBB6_193
; %bb.192:                              ;   in Loop: Header=BB6_191 Depth=1
	global_load_b32 v0, v[8:9], off offset:20 glc
	s_waitcnt vmcnt(0)
	buffer_gl1_inv
	buffer_gl0_inv
	v_and_b32_e32 v0, 1, v0
.LBB6_193:                              ;   in Loop: Header=BB6_191 Depth=1
	s_or_b32 exec_lo, exec_lo, s1
	s_delay_alu instid0(VALU_DEP_1) | instskip(NEXT) | instid1(VALU_DEP_1)
	v_readfirstlane_b32 s1, v0
	s_cmp_eq_u32 s1, 0
	s_cbranch_scc1 .LBB6_190
; %bb.194:                              ;   in Loop: Header=BB6_191 Depth=1
	s_sleep 1
	s_cbranch_execnz .LBB6_191
.LBB6_195:
	s_and_saveexec_b32 s1, s0
	s_cbranch_execz .LBB6_199
; %bb.196:
	v_mov_b32_e32 v6, 0
	s_clause 0x2
	global_load_b64 v[2:3], v6, s[2:3] offset:40
	global_load_b64 v[7:8], v6, s[2:3] offset:24 glc
	global_load_b64 v[4:5], v6, s[2:3]
	s_waitcnt vmcnt(2)
	v_add_co_u32 v9, vcc_lo, v2, 1
	v_add_co_ci_u32_e32 v10, vcc_lo, 0, v3, vcc_lo
	s_delay_alu instid0(VALU_DEP_2) | instskip(NEXT) | instid1(VALU_DEP_2)
	v_add_co_u32 v0, vcc_lo, v9, s4
	v_add_co_ci_u32_e32 v1, vcc_lo, s5, v10, vcc_lo
	s_delay_alu instid0(VALU_DEP_1) | instskip(SKIP_1) | instid1(VALU_DEP_1)
	v_cmp_eq_u64_e32 vcc_lo, 0, v[0:1]
	v_dual_cndmask_b32 v1, v1, v10 :: v_dual_cndmask_b32 v0, v0, v9
	v_and_b32_e32 v3, v1, v3
	s_delay_alu instid0(VALU_DEP_2) | instskip(NEXT) | instid1(VALU_DEP_2)
	v_and_b32_e32 v2, v0, v2
	v_mul_lo_u32 v3, v3, 24
	s_delay_alu instid0(VALU_DEP_2) | instskip(SKIP_1) | instid1(VALU_DEP_2)
	v_mul_hi_u32 v9, v2, 24
	v_mul_lo_u32 v2, v2, 24
	v_add_nc_u32_e32 v3, v9, v3
	s_waitcnt vmcnt(0)
	s_delay_alu instid0(VALU_DEP_2) | instskip(SKIP_1) | instid1(VALU_DEP_3)
	v_add_co_u32 v4, vcc_lo, v4, v2
	v_mov_b32_e32 v2, v7
	v_add_co_ci_u32_e32 v5, vcc_lo, v5, v3, vcc_lo
	v_mov_b32_e32 v3, v8
	global_store_b64 v[4:5], v[7:8], off
	s_waitcnt_vscnt null, 0x0
	global_atomic_cmpswap_b64 v[2:3], v6, v[0:3], s[2:3] offset:24 glc
	s_waitcnt vmcnt(0)
	v_cmp_ne_u64_e32 vcc_lo, v[2:3], v[7:8]
	s_and_b32 exec_lo, exec_lo, vcc_lo
	s_cbranch_execz .LBB6_199
; %bb.197:
	s_mov_b32 s0, 0
.LBB6_198:                              ; =>This Inner Loop Header: Depth=1
	s_sleep 1
	global_store_b64 v[4:5], v[2:3], off
	s_waitcnt_vscnt null, 0x0
	global_atomic_cmpswap_b64 v[7:8], v6, v[0:3], s[2:3] offset:24 glc
	s_waitcnt vmcnt(0)
	v_cmp_eq_u64_e32 vcc_lo, v[7:8], v[2:3]
	v_dual_mov_b32 v2, v7 :: v_dual_mov_b32 v3, v8
	s_or_b32 s0, vcc_lo, s0
	s_delay_alu instid0(SALU_CYCLE_1)
	s_and_not1_b32 exec_lo, exec_lo, s0
	s_cbranch_execnz .LBB6_198
.LBB6_199:
	s_or_b32 exec_lo, exec_lo, s1
.LBB6_200:
	s_getpc_b64 s[0:1]
	s_add_u32 s0, s0, .str.29@rel32@lo+4
	s_addc_u32 s1, s1, .str.29@rel32@hi+12
	s_getpc_b64 s[2:3]
	s_add_u32 s2, s2, .str.19@rel32@lo+4
	s_addc_u32 s3, s3, .str.19@rel32@hi+12
	s_getpc_b64 s[4:5]
	s_add_u32 s4, s4, __PRETTY_FUNCTION__._ZN7VecsMemIjLi8192EE5fetchEi@rel32@lo+4
	s_addc_u32 s5, s5, __PRETTY_FUNCTION__._ZN7VecsMemIjLi8192EE5fetchEi@rel32@hi+12
	s_waitcnt vmcnt(0)
	v_dual_mov_b32 v0, s0 :: v_dual_mov_b32 v1, s1
	v_dual_mov_b32 v2, s2 :: v_dual_mov_b32 v3, s3
	;; [unrolled: 1-line block ×3, first 2 shown]
	v_mov_b32_e32 v6, s5
	s_mov_b64 s[8:9], s[44:45]
	s_getpc_b64 s[6:7]
	s_add_u32 s6, s6, __assert_fail@rel32@lo+4
	s_addc_u32 s7, s7, __assert_fail@rel32@hi+12
	s_delay_alu instid0(SALU_CYCLE_1)
	s_swappc_b64 s[30:31], s[6:7]
	s_or_b32 s0, s18, exec_lo
.LBB6_201:
	s_or_b32 exec_lo, exec_lo, s19
	s_delay_alu instid0(SALU_CYCLE_1) | instskip(SKIP_1) | instid1(SALU_CYCLE_1)
	s_and_not1_b32 s1, s18, exec_lo
	s_and_b32 s0, s0, exec_lo
	s_or_b32 s19, s1, s0
	s_or_not1_b32 s1, s26, exec_lo
.LBB6_202:
	s_or_b32 exec_lo, exec_lo, s20
	s_mov_b32 s0, 0
                                        ; implicit-def: $vgpr64
	s_and_saveexec_b32 s20, s1
	s_cbranch_execz .LBB6_412
; %bb.203:
	v_add_co_u32 v0, vcc_lo, v62, 4
	v_add_co_ci_u32_e32 v1, vcc_lo, 0, v63, vcc_lo
	v_dual_mov_b32 v64, 0 :: v_dual_mov_b32 v3, 0
	v_mov_b32_e32 v8, 0
	s_mov_b32 s5, 0
	s_mov_b32 s8, 0
	;; [unrolled: 1-line block ×3, first 2 shown]
	scratch_store_b64 off, v[53:54], s33 offset:152
                                        ; implicit-def: $sgpr3
	s_branch .LBB6_205
.LBB6_204:                              ;   in Loop: Header=BB6_205 Depth=1
	s_or_b32 exec_lo, exec_lo, s4
	s_xor_b32 s0, s0, -1
	s_and_b32 s1, exec_lo, s1
	s_delay_alu instid0(SALU_CYCLE_1) | instskip(SKIP_2) | instid1(SALU_CYCLE_1)
	s_or_b32 s8, s1, s8
	s_and_not1_b32 s1, s3, exec_lo
	s_and_b32 s0, s0, exec_lo
	s_or_b32 s3, s1, s0
	s_and_not1_b32 exec_lo, exec_lo, s8
	s_cbranch_execz .LBB6_249
.LBB6_205:                              ; =>This Loop Header: Depth=1
                                        ;     Child Loop BB6_208 Depth 2
                                        ;     Child Loop BB6_213 Depth 2
                                        ;       Child Loop BB6_217 Depth 3
                                        ;     Child Loop BB6_226 Depth 2
                                        ;       Child Loop BB6_232 Depth 3
	s_mov_b32 s7, s5
	s_mov_b32 s2, -1
	s_lshl_b64 s[0:1], s[6:7], 2
	s_mov_b32 s7, exec_lo
	v_add_co_u32 v4, vcc_lo, v62, s0
	v_add_co_ci_u32_e32 v5, vcc_lo, s1, v63, vcc_lo
                                        ; implicit-def: $sgpr0
	flat_load_b32 v2, v[4:5]
	s_waitcnt vmcnt(0) lgkmcnt(0)
	v_cmpx_lt_i32_e32 -1, v2
	s_cbranch_execz .LBB6_247
; %bb.206:                              ;   in Loop: Header=BB6_205 Depth=1
	v_dual_mov_b32 v6, v66 :: v_dual_mov_b32 v7, v67
	s_mov_b32 s1, 0
	s_mov_b32 s2, 0
                                        ; implicit-def: $sgpr4
	s_branch .LBB6_208
	.p2align	6
.LBB6_207:                              ;   in Loop: Header=BB6_208 Depth=2
	s_or_b32 exec_lo, exec_lo, s9
	s_delay_alu instid0(SALU_CYCLE_1) | instskip(NEXT) | instid1(SALU_CYCLE_1)
	s_and_b32 s0, exec_lo, s4
	s_or_b32 s1, s0, s1
	s_delay_alu instid0(SALU_CYCLE_1)
	s_and_not1_b32 exec_lo, exec_lo, s1
	s_cbranch_execz .LBB6_210
.LBB6_208:                              ;   Parent Loop BB6_205 Depth=1
                                        ; =>  This Inner Loop Header: Depth=2
	flat_load_b32 v10, v[6:7]
	s_or_b32 s4, s4, exec_lo
	s_waitcnt vmcnt(0) lgkmcnt(0)
	v_and_b32_e32 v9, v10, v2
	s_delay_alu instid0(VALU_DEP_1)
	v_cmp_ne_u32_e32 vcc_lo, v9, v10
	v_mov_b32_e32 v9, s2
	s_and_saveexec_b32 s9, vcc_lo
	s_cbranch_execz .LBB6_207
; %bb.209:                              ;   in Loop: Header=BB6_208 Depth=2
	s_add_i32 s2, s2, 1
	v_add_co_u32 v6, s0, v6, 4
	v_cmp_eq_u32_e32 vcc_lo, s2, v55
	v_add_co_ci_u32_e64 v7, s0, 0, v7, s0
	v_mov_b32_e32 v9, v55
	s_and_not1_b32 s0, s4, exec_lo
	s_and_b32 s4, vcc_lo, exec_lo
	s_delay_alu instid0(SALU_CYCLE_1)
	s_or_b32 s4, s0, s4
	s_branch .LBB6_207
.LBB6_210:                              ;   in Loop: Header=BB6_205 Depth=1
	s_or_b32 exec_lo, exec_lo, s1
	s_mov_b32 s1, -1
	s_mov_b32 s9, exec_lo
                                        ; implicit-def: $sgpr2
	v_cmpx_ne_u32_e64 v9, v55
	s_cbranch_execz .LBB6_246
; %bb.211:                              ;   in Loop: Header=BB6_205 Depth=1
	v_not_b32_e32 v6, v10
	v_cmp_lt_i32_e32 vcc_lo, 0, v46
	s_mov_b32 s10, 0
	s_delay_alu instid0(SALU_CYCLE_1) | instskip(NEXT) | instid1(VALU_DEP_2)
	s_mov_b32 s4, s10
	v_and_b32_e32 v10, v2, v6
	s_branch .LBB6_213
.LBB6_212:                              ;   in Loop: Header=BB6_213 Depth=2
	s_or_b32 exec_lo, exec_lo, s2
	s_delay_alu instid0(SALU_CYCLE_1) | instskip(NEXT) | instid1(SALU_CYCLE_1)
	s_and_b32 s0, exec_lo, s11
	s_or_b32 s10, s0, s10
	s_delay_alu instid0(SALU_CYCLE_1)
	s_and_not1_b32 exec_lo, exec_lo, s10
	s_cbranch_execz .LBB6_223
.LBB6_213:                              ;   Parent Loop BB6_205 Depth=1
                                        ; =>  This Loop Header: Depth=2
                                        ;       Child Loop BB6_217 Depth 3
	s_mov_b32 s11, -1
	s_mov_b32 s1, -1
	s_mov_b32 s12, exec_lo
	v_cmpx_ne_u32_e64 s4, v9
	s_cbranch_execz .LBB6_221
; %bb.214:                              ;   in Loop: Header=BB6_213 Depth=2
	v_mov_b32_e32 v13, 0
	s_and_saveexec_b32 s13, vcc_lo
	s_cbranch_execz .LBB6_220
; %bb.215:                              ;   in Loop: Header=BB6_213 Depth=2
	s_lshl_b64 s[0:1], s[4:5], 2
	s_mov_b32 s14, 0
	v_add_co_u32 v6, s0, v66, s0
	s_delay_alu instid0(VALU_DEP_1)
	v_add_co_ci_u32_e64 v7, s0, s1, v67, s0
	s_mov_b32 s15, 0
                                        ; implicit-def: $sgpr16
	flat_load_b32 v11, v[6:7]
	v_dual_mov_b32 v6, v62 :: v_dual_mov_b32 v7, v63
	s_waitcnt vmcnt(0) lgkmcnt(0)
	v_not_b32_e32 v12, v11
	s_set_inst_prefetch_distance 0x1
	s_branch .LBB6_217
	.p2align	6
.LBB6_216:                              ;   in Loop: Header=BB6_217 Depth=3
	s_or_b32 exec_lo, exec_lo, s2
	s_delay_alu instid0(SALU_CYCLE_1) | instskip(NEXT) | instid1(SALU_CYCLE_1)
	s_and_b32 s0, exec_lo, s16
	s_or_b32 s14, s0, s14
	s_delay_alu instid0(SALU_CYCLE_1)
	s_and_not1_b32 exec_lo, exec_lo, s14
	s_cbranch_execz .LBB6_219
.LBB6_217:                              ;   Parent Loop BB6_205 Depth=1
                                        ;     Parent Loop BB6_213 Depth=2
                                        ; =>    This Inner Loop Header: Depth=3
	flat_load_b32 v8, v[6:7]
	s_or_b32 s16, s16, exec_lo
	s_waitcnt vmcnt(0) lgkmcnt(0)
	v_and_b32_e32 v13, v8, v11
	v_and_b32_e32 v14, v8, v12
	v_cmp_gt_i32_e64 s2, 0, v8
	s_delay_alu instid0(VALU_DEP_3) | instskip(SKIP_1) | instid1(VALU_DEP_4)
	v_cmp_ne_u32_e64 s0, v13, v11
	v_mov_b32_e32 v13, s15
	v_cmp_ne_u32_e64 s1, v10, v14
	s_delay_alu instid0(VALU_DEP_1) | instskip(NEXT) | instid1(SALU_CYCLE_1)
	s_or_b32 s0, s0, s1
	s_or_b32 s0, s0, s2
	s_delay_alu instid0(SALU_CYCLE_1)
	s_and_saveexec_b32 s2, s0
	s_cbranch_execz .LBB6_216
; %bb.218:                              ;   in Loop: Header=BB6_217 Depth=3
	s_add_i32 s15, s15, 1
	v_add_co_u32 v6, s1, v6, 4
	v_cmp_eq_u32_e64 s0, s15, v46
	v_add_co_ci_u32_e64 v7, s1, 0, v7, s1
	v_mov_b32_e32 v13, v46
	s_and_not1_b32 s1, s16, exec_lo
	s_delay_alu instid0(VALU_DEP_3) | instskip(NEXT) | instid1(SALU_CYCLE_1)
	s_and_b32 s0, s0, exec_lo
	s_or_b32 s16, s1, s0
	s_branch .LBB6_216
.LBB6_219:                              ;   in Loop: Header=BB6_213 Depth=2
	s_set_inst_prefetch_distance 0x2
	s_or_b32 exec_lo, exec_lo, s14
.LBB6_220:                              ;   in Loop: Header=BB6_213 Depth=2
	s_delay_alu instid0(SALU_CYCLE_1) | instskip(NEXT) | instid1(VALU_DEP_1)
	s_or_b32 exec_lo, exec_lo, s13
	v_cmp_ne_u32_e64 s0, v13, v46
	s_delay_alu instid0(VALU_DEP_1)
	s_or_not1_b32 s1, s0, exec_lo
.LBB6_221:                              ;   in Loop: Header=BB6_213 Depth=2
	s_or_b32 exec_lo, exec_lo, s12
	v_mov_b32_e32 v6, s4
	s_and_saveexec_b32 s2, s1
	s_cbranch_execz .LBB6_212
; %bb.222:                              ;   in Loop: Header=BB6_213 Depth=2
	s_add_i32 s4, s4, 1
	v_mov_b32_e32 v6, v55
	v_cmp_eq_u32_e64 s0, s4, v55
	s_delay_alu instid0(VALU_DEP_1)
	s_or_not1_b32 s11, s0, exec_lo
	s_branch .LBB6_212
.LBB6_223:                              ;   in Loop: Header=BB6_205 Depth=1
	s_or_b32 exec_lo, exec_lo, s10
	s_mov_b32 s0, -1
	s_mov_b32 s2, exec_lo
                                        ; implicit-def: $sgpr1
	v_cmpx_eq_u32_e64 v6, v55
	s_cbranch_execz .LBB6_245
; %bb.224:                              ;   in Loop: Header=BB6_205 Depth=1
	v_ashrrev_i32_e32 v65, 31, v64
	v_or_b32_e32 v2, 0x80000000, v2
	s_mov_b32 s11, 0
                                        ; implicit-def: $sgpr10
                                        ; implicit-def: $sgpr12
	s_delay_alu instid0(SALU_CYCLE_1) | instskip(NEXT) | instid1(VALU_DEP_2)
	s_mov_b32 s4, s11
	v_lshlrev_b64 v[6:7], 2, v[64:65]
	s_delay_alu instid0(VALU_DEP_1) | instskip(NEXT) | instid1(VALU_DEP_2)
	v_add_co_u32 v6, vcc_lo, v53, v6
	v_add_co_ci_u32_e32 v7, vcc_lo, v54, v7, vcc_lo
	flat_store_b32 v[6:7], v10
	flat_store_b32 v[4:5], v2
	s_branch .LBB6_226
.LBB6_225:                              ;   in Loop: Header=BB6_226 Depth=2
	s_or_b32 exec_lo, exec_lo, s14
	s_xor_b32 s1, s1, -1
	s_and_b32 s13, exec_lo, s13
	s_delay_alu instid0(SALU_CYCLE_1)
	s_or_b32 s11, s13, s11
	s_and_not1_b32 s12, s12, exec_lo
	s_and_b32 s1, s1, exec_lo
	s_and_not1_b32 s10, s10, exec_lo
	s_and_b32 s0, s0, exec_lo
	s_or_b32 s12, s12, s1
	s_or_b32 s10, s10, s0
	s_and_not1_b32 exec_lo, exec_lo, s11
	s_cbranch_execz .LBB6_242
.LBB6_226:                              ;   Parent Loop BB6_205 Depth=1
                                        ; =>  This Loop Header: Depth=2
                                        ;       Child Loop BB6_232 Depth 3
	s_mov_b32 s13, -1
	s_mov_b32 s15, -1
	s_mov_b32 s14, exec_lo
                                        ; implicit-def: $sgpr0
	v_cmpx_ne_u32_e64 s4, v9
	s_cbranch_execz .LBB6_240
; %bb.227:                              ;   in Loop: Header=BB6_226 Depth=2
	flat_load_b32 v6, v[60:61] offset:4
	v_mov_b32_e32 v2, 0
	s_mov_b32 s15, 0
	s_mov_b32 s0, 0
	s_mov_b32 s16, exec_lo
	s_waitcnt vmcnt(0) lgkmcnt(0)
	v_cmpx_lt_i32_e32 0, v6
	s_cbranch_execz .LBB6_237
; %bb.228:                              ;   in Loop: Header=BB6_226 Depth=2
	s_lshl_b64 s[0:1], s[4:5], 2
	s_delay_alu instid0(SALU_CYCLE_1)
	v_add_co_u32 v4, vcc_lo, v66, s0
	v_add_co_ci_u32_e32 v5, vcc_lo, s1, v67, vcc_lo
	flat_load_b32 v7, v[4:5]
	flat_load_b32 v8, v[62:63]
	s_waitcnt vmcnt(1) lgkmcnt(1)
	v_not_b32_e32 v11, v7
	s_waitcnt vmcnt(0) lgkmcnt(0)
	v_and_b32_e32 v2, v8, v7
	v_cmp_gt_i32_e64 s1, 0, v8
	s_delay_alu instid0(VALU_DEP_3) | instskip(NEXT) | instid1(VALU_DEP_3)
	v_and_b32_e32 v4, v8, v11
	v_cmp_ne_u32_e32 vcc_lo, v2, v7
	v_mov_b32_e32 v2, 0
	s_delay_alu instid0(VALU_DEP_3) | instskip(NEXT) | instid1(VALU_DEP_1)
	v_cmp_ne_u32_e64 s0, v10, v4
	s_or_b32 s0, vcc_lo, s0
	s_delay_alu instid0(SALU_CYCLE_1)
	s_or_b32 s1, s0, s1
	s_mov_b32 s0, -1
	s_and_saveexec_b32 s26, s1
	s_cbranch_execz .LBB6_236
; %bb.229:                              ;   in Loop: Header=BB6_226 Depth=2
	v_mov_b32_e32 v2, 1
	s_mov_b32 s28, 1
	s_mov_b32 s27, exec_lo
	v_cmpx_ne_u32_e32 1, v6
	s_cbranch_execz .LBB6_235
; %bb.230:                              ;   in Loop: Header=BB6_226 Depth=2
	v_dual_mov_b32 v5, v1 :: v_dual_mov_b32 v4, v0
	s_mov_b32 s29, 0
                                        ; implicit-def: $vcc_hi
	s_set_inst_prefetch_distance 0x1
	s_branch .LBB6_232
	.p2align	6
.LBB6_231:                              ;   in Loop: Header=BB6_232 Depth=3
	s_or_b32 exec_lo, exec_lo, s1
	s_delay_alu instid0(SALU_CYCLE_1) | instskip(NEXT) | instid1(SALU_CYCLE_1)
	s_and_b32 s0, exec_lo, vcc_hi
	s_or_b32 s29, s0, s29
	s_delay_alu instid0(SALU_CYCLE_1)
	s_and_not1_b32 exec_lo, exec_lo, s29
	s_cbranch_execz .LBB6_234
.LBB6_232:                              ;   Parent Loop BB6_205 Depth=1
                                        ;     Parent Loop BB6_226 Depth=2
                                        ; =>    This Inner Loop Header: Depth=3
	flat_load_b32 v8, v[4:5]
	s_waitcnt vmcnt(0) lgkmcnt(0)
	v_and_b32_e32 v2, v8, v7
	v_and_b32_e32 v12, v8, v11
	v_cmp_gt_i32_e64 s1, 0, v8
	s_delay_alu instid0(VALU_DEP_3) | instskip(NEXT) | instid1(VALU_DEP_3)
	v_cmp_ne_u32_e32 vcc_lo, v2, v7
	v_cmp_ne_u32_e64 s0, v10, v12
	v_mov_b32_e32 v2, s28
	s_or_b32 vcc_hi, vcc_hi, exec_lo
	s_delay_alu instid0(VALU_DEP_2) | instskip(NEXT) | instid1(SALU_CYCLE_1)
	s_or_b32 s0, vcc_lo, s0
	s_or_b32 s0, s0, s1
	s_delay_alu instid0(SALU_CYCLE_1)
	s_and_saveexec_b32 s1, s0
	s_cbranch_execz .LBB6_231
; %bb.233:                              ;   in Loop: Header=BB6_232 Depth=3
	s_add_i32 s28, s28, 1
	v_add_co_u32 v4, s0, v4, 4
	v_cmp_eq_u32_e32 vcc_lo, s28, v6
	v_add_co_ci_u32_e64 v5, s0, 0, v5, s0
	v_mov_b32_e32 v2, v6
	s_and_not1_b32 s0, vcc_hi, exec_lo
	s_and_b32 vcc_lo, vcc_lo, exec_lo
	s_delay_alu instid0(SALU_CYCLE_1)
	s_or_b32 vcc_hi, s0, vcc_lo
	s_branch .LBB6_231
.LBB6_234:                              ;   in Loop: Header=BB6_226 Depth=2
	s_set_inst_prefetch_distance 0x2
	s_or_b32 exec_lo, exec_lo, s29
.LBB6_235:                              ;   in Loop: Header=BB6_226 Depth=2
	s_delay_alu instid0(SALU_CYCLE_1)
	s_or_b32 exec_lo, exec_lo, s27
	v_cmp_lt_i32_e32 vcc_lo, v2, v6
	s_or_not1_b32 s0, vcc_lo, exec_lo
.LBB6_236:                              ;   in Loop: Header=BB6_226 Depth=2
	s_or_b32 exec_lo, exec_lo, s26
	s_delay_alu instid0(SALU_CYCLE_1)
	s_and_b32 s0, s0, exec_lo
.LBB6_237:                              ;   in Loop: Header=BB6_226 Depth=2
	s_or_b32 exec_lo, exec_lo, s16
	s_and_saveexec_b32 s1, s0
	s_cbranch_execz .LBB6_239
; %bb.238:                              ;   in Loop: Header=BB6_226 Depth=2
	v_lshlrev_b64 v[4:5], 2, v[2:3]
	v_or_b32_e32 v2, 0x80000000, v8
	s_mov_b32 s15, exec_lo
	s_delay_alu instid0(VALU_DEP_2) | instskip(NEXT) | instid1(VALU_DEP_3)
	v_add_co_u32 v4, vcc_lo, v62, v4
	v_add_co_ci_u32_e32 v5, vcc_lo, v63, v5, vcc_lo
	flat_store_b32 v[4:5], v2
.LBB6_239:                              ;   in Loop: Header=BB6_226 Depth=2
	s_or_b32 exec_lo, exec_lo, s1
	s_mov_b32 s0, -1
	s_or_not1_b32 s15, s15, exec_lo
.LBB6_240:                              ;   in Loop: Header=BB6_226 Depth=2
	s_or_b32 exec_lo, exec_lo, s14
	s_mov_b32 s1, s0
	s_and_saveexec_b32 s14, s15
	s_cbranch_execz .LBB6_225
; %bb.241:                              ;   in Loop: Header=BB6_226 Depth=2
	s_add_i32 s4, s4, 1
	s_and_not1_b32 s1, s0, exec_lo
	v_cmp_eq_u32_e32 vcc_lo, s4, v55
	s_or_not1_b32 s13, vcc_lo, exec_lo
	s_branch .LBB6_225
.LBB6_242:                              ;   in Loop: Header=BB6_205 Depth=1
	s_or_b32 exec_lo, exec_lo, s11
	s_mov_b32 s0, 0
                                        ; implicit-def: $vgpr46
	s_and_saveexec_b32 s1, s12
	s_delay_alu instid0(SALU_CYCLE_1)
	s_xor_b32 s1, exec_lo, s1
	s_cbranch_execz .LBB6_244
; %bb.243:                              ;   in Loop: Header=BB6_205 Depth=1
	flat_load_b32 v46, v[60:61] offset:4
	v_add_nc_u32_e32 v64, 1, v64
	s_mov_b32 s0, exec_lo
	s_and_not1_b32 s10, s10, exec_lo
.LBB6_244:                              ;   in Loop: Header=BB6_205 Depth=1
	s_or_b32 exec_lo, exec_lo, s1
	s_delay_alu instid0(SALU_CYCLE_1)
	s_and_b32 s1, s10, exec_lo
	s_or_not1_b32 s0, s0, exec_lo
.LBB6_245:                              ;   in Loop: Header=BB6_205 Depth=1
	s_or_b32 exec_lo, exec_lo, s2
	s_delay_alu instid0(SALU_CYCLE_1)
	s_and_b32 s2, s1, exec_lo
	s_or_not1_b32 s1, s0, exec_lo
.LBB6_246:                              ;   in Loop: Header=BB6_205 Depth=1
	s_or_b32 exec_lo, exec_lo, s9
	s_delay_alu instid0(SALU_CYCLE_1)
	s_and_b32 s0, s2, exec_lo
	s_or_not1_b32 s2, s1, exec_lo
.LBB6_247:                              ;   in Loop: Header=BB6_205 Depth=1
	s_or_b32 exec_lo, exec_lo, s7
	s_mov_b32 s1, -1
	s_and_saveexec_b32 s4, s2
	s_cbranch_execz .LBB6_204
; %bb.248:                              ;   in Loop: Header=BB6_205 Depth=1
	s_add_i32 s6, s6, 1
	s_and_not1_b32 s0, s0, exec_lo
	s_waitcnt vmcnt(0) lgkmcnt(0)
	v_cmp_ge_i32_e32 vcc_lo, s6, v46
	s_or_not1_b32 s1, vcc_lo, exec_lo
	s_branch .LBB6_204
.LBB6_249:
	s_or_b32 exec_lo, exec_lo, s8
	s_mov_b32 s27, 0
	s_mov_b32 s28, s19
	s_and_saveexec_b32 s0, s3
	s_delay_alu instid0(SALU_CYCLE_1)
	s_xor_b32 s26, exec_lo, s0
	s_cbranch_execz .LBB6_409
; %bb.250:
	v_mul_lo_u32 v0, v64, v55
	v_mov_b32_e32 v66, 0
	s_mov_b32 s1, -1
	s_mov_b32 s29, s19
	s_mov_b32 s27, exec_lo
	v_mov_b32_e32 v67, 0
	s_waitcnt vmcnt(0) lgkmcnt(0)
	s_delay_alu instid0(VALU_DEP_3)
	v_sub_nc_u32_e32 v65, v46, v0
	v_mov_b32_e32 v0, 0
	s_clause 0x1
	scratch_store_b32 off, v64, s33 offset:148
	scratch_store_b32 off, v0, s33 offset:164
	v_cmpx_lt_i32_e32 0, v65
	s_cbranch_execz .LBB6_396
; %bb.251:
	flat_load_b32 v0, v[58:59]
	v_mov_b32_e32 v66, 0
	s_mov_b32 s28, 0
	s_mov_b32 s0, exec_lo
	s_waitcnt vmcnt(0) lgkmcnt(0)
	v_dual_mov_b32 v67, 0 :: v_dual_add_nc_u32 v0, v0, v65
	s_delay_alu instid0(VALU_DEP_1)
	v_cmpx_gt_i32_e32 0x2001, v0
	s_xor_b32 s0, exec_lo, s0
	s_cbranch_execz .LBB6_253
; %bb.252:
	v_ashrrev_i32_e32 v1, 31, v0
	v_mov_b32_e32 v66, 0
	s_mov_b32 s28, exec_lo
	flat_store_b32 v[58:59], v0
	v_lshlrev_b64 v[1:2], 2, v[0:1]
	v_lshlrev_b64 v[3:4], 2, v[65:66]
	s_delay_alu instid0(VALU_DEP_2) | instskip(NEXT) | instid1(VALU_DEP_3)
	v_add_co_u32 v1, vcc_lo, v58, v1
	v_add_co_ci_u32_e32 v2, vcc_lo, v59, v2, vcc_lo
	s_delay_alu instid0(VALU_DEP_2) | instskip(NEXT) | instid1(VALU_DEP_2)
	v_sub_co_u32 v1, vcc_lo, v1, v3
	v_sub_co_ci_u32_e32 v2, vcc_lo, v2, v4, vcc_lo
	s_delay_alu instid0(VALU_DEP_2) | instskip(NEXT) | instid1(VALU_DEP_2)
	v_add_co_u32 v66, vcc_lo, v1, 4
	v_add_co_ci_u32_e32 v67, vcc_lo, 0, v2, vcc_lo
.LBB6_253:
	s_or_saveexec_b32 s29, s0
	s_mov_b32 s0, s19
	s_xor_b32 exec_lo, exec_lo, s29
	s_cbranch_execz .LBB6_395
; %bb.254:
	s_load_b64 s[2:3], s[44:45], 0x50
	v_mbcnt_lo_u32_b32 v29, -1, 0
	v_mov_b32_e32 v6, 0
	v_mov_b32_e32 v7, 0
	s_delay_alu instid0(VALU_DEP_3) | instskip(NEXT) | instid1(VALU_DEP_1)
	v_readfirstlane_b32 s0, v29
	v_cmp_eq_u32_e64 s0, s0, v29
	s_delay_alu instid0(VALU_DEP_1)
	s_and_saveexec_b32 s1, s0
	s_cbranch_execz .LBB6_260
; %bb.255:
	v_mov_b32_e32 v0, 0
	s_mov_b32 s4, exec_lo
	s_waitcnt lgkmcnt(0)
	global_load_b64 v[3:4], v0, s[2:3] offset:24 glc
	s_waitcnt vmcnt(0)
	buffer_gl1_inv
	buffer_gl0_inv
	s_clause 0x1
	global_load_b64 v[1:2], v0, s[2:3] offset:40
	global_load_b64 v[5:6], v0, s[2:3]
	s_waitcnt vmcnt(1)
	v_and_b32_e32 v1, v1, v3
	v_and_b32_e32 v2, v2, v4
	s_delay_alu instid0(VALU_DEP_2) | instskip(NEXT) | instid1(VALU_DEP_2)
	v_mul_hi_u32 v7, v1, 24
	v_mul_lo_u32 v2, v2, 24
	v_mul_lo_u32 v1, v1, 24
	s_delay_alu instid0(VALU_DEP_2) | instskip(SKIP_1) | instid1(VALU_DEP_2)
	v_add_nc_u32_e32 v2, v7, v2
	s_waitcnt vmcnt(0)
	v_add_co_u32 v1, vcc_lo, v5, v1
	s_delay_alu instid0(VALU_DEP_2)
	v_add_co_ci_u32_e32 v2, vcc_lo, v6, v2, vcc_lo
	global_load_b64 v[1:2], v[1:2], off glc
	s_waitcnt vmcnt(0)
	global_atomic_cmpswap_b64 v[6:7], v0, v[1:4], s[2:3] offset:24 glc
	s_waitcnt vmcnt(0)
	buffer_gl1_inv
	buffer_gl0_inv
	v_cmpx_ne_u64_e64 v[6:7], v[3:4]
	s_cbranch_execz .LBB6_259
; %bb.256:
	s_mov_b32 s5, 0
.LBB6_257:                              ; =>This Inner Loop Header: Depth=1
	s_sleep 1
	s_clause 0x1
	global_load_b64 v[1:2], v0, s[2:3] offset:40
	global_load_b64 v[8:9], v0, s[2:3]
	v_dual_mov_b32 v3, v6 :: v_dual_mov_b32 v4, v7
	s_waitcnt vmcnt(1)
	s_delay_alu instid0(VALU_DEP_1) | instskip(NEXT) | instid1(VALU_DEP_2)
	v_and_b32_e32 v1, v1, v3
	v_and_b32_e32 v2, v2, v4
	s_waitcnt vmcnt(0)
	s_delay_alu instid0(VALU_DEP_2) | instskip(NEXT) | instid1(VALU_DEP_1)
	v_mad_u64_u32 v[5:6], null, v1, 24, v[8:9]
	v_mov_b32_e32 v1, v6
	s_delay_alu instid0(VALU_DEP_1)
	v_mad_u64_u32 v[6:7], null, v2, 24, v[1:2]
	global_load_b64 v[1:2], v[5:6], off glc
	s_waitcnt vmcnt(0)
	global_atomic_cmpswap_b64 v[6:7], v0, v[1:4], s[2:3] offset:24 glc
	s_waitcnt vmcnt(0)
	buffer_gl1_inv
	buffer_gl0_inv
	v_cmp_eq_u64_e32 vcc_lo, v[6:7], v[3:4]
	s_or_b32 s5, vcc_lo, s5
	s_delay_alu instid0(SALU_CYCLE_1)
	s_and_not1_b32 exec_lo, exec_lo, s5
	s_cbranch_execnz .LBB6_257
; %bb.258:
	s_or_b32 exec_lo, exec_lo, s5
.LBB6_259:
	s_delay_alu instid0(SALU_CYCLE_1)
	s_or_b32 exec_lo, exec_lo, s4
.LBB6_260:
	s_delay_alu instid0(SALU_CYCLE_1)
	s_or_b32 exec_lo, exec_lo, s1
	v_mov_b32_e32 v5, 0
	v_readfirstlane_b32 s4, v6
	v_readfirstlane_b32 s5, v7
	s_mov_b32 s1, exec_lo
	s_waitcnt lgkmcnt(0)
	s_clause 0x1
	global_load_b64 v[8:9], v5, s[2:3] offset:40
	global_load_b128 v[0:3], v5, s[2:3]
	s_waitcnt vmcnt(1)
	v_readfirstlane_b32 s6, v8
	v_readfirstlane_b32 s7, v9
	s_delay_alu instid0(VALU_DEP_1) | instskip(NEXT) | instid1(SALU_CYCLE_1)
	s_and_b64 s[6:7], s[4:5], s[6:7]
	s_mul_i32 s8, s7, 24
	s_mul_hi_u32 s9, s6, 24
	s_mul_i32 s10, s6, 24
	s_add_i32 s9, s9, s8
	s_waitcnt vmcnt(0)
	v_add_co_u32 v8, vcc_lo, v0, s10
	v_add_co_ci_u32_e32 v9, vcc_lo, s9, v1, vcc_lo
	s_and_saveexec_b32 s8, s0
	s_cbranch_execz .LBB6_262
; %bb.261:
	v_dual_mov_b32 v4, s1 :: v_dual_mov_b32 v7, 1
	v_mov_b32_e32 v6, 2
	global_store_b128 v[8:9], v[4:7], off offset:8
.LBB6_262:
	s_or_b32 exec_lo, exec_lo, s8
	s_lshl_b64 s[6:7], s[6:7], 12
	v_dual_mov_b32 v7, v5 :: v_dual_lshlrev_b32 v28, 6, v29
	v_add_co_u32 v2, vcc_lo, v2, s6
	v_add_co_ci_u32_e32 v3, vcc_lo, s7, v3, vcc_lo
	s_mov_b32 s8, 0
	s_delay_alu instid0(VALU_DEP_2)
	v_add_co_u32 v10, vcc_lo, v2, v28
	s_mov_b32 s11, s8
	s_mov_b32 s9, s8
	;; [unrolled: 1-line block ×3, first 2 shown]
	v_dual_mov_b32 v4, 33 :: v_dual_mov_b32 v15, s11
	v_dual_mov_b32 v6, v5 :: v_dual_mov_b32 v13, s9
	v_readfirstlane_b32 s6, v2
	v_readfirstlane_b32 s7, v3
	v_add_co_ci_u32_e32 v11, vcc_lo, 0, v3, vcc_lo
	v_mov_b32_e32 v14, s10
	v_mov_b32_e32 v12, s8
	s_clause 0x3
	global_store_b128 v28, v[4:7], s[6:7]
	global_store_b128 v28, v[12:15], s[6:7] offset:16
	global_store_b128 v28, v[12:15], s[6:7] offset:32
	;; [unrolled: 1-line block ×3, first 2 shown]
	s_and_saveexec_b32 s1, s0
	s_cbranch_execz .LBB6_270
; %bb.263:
	v_mov_b32_e32 v6, 0
	s_mov_b32 s6, exec_lo
	s_clause 0x1
	global_load_b64 v[14:15], v6, s[2:3] offset:32 glc
	global_load_b64 v[2:3], v6, s[2:3] offset:40
	v_dual_mov_b32 v13, s5 :: v_dual_mov_b32 v12, s4
	s_waitcnt vmcnt(0)
	v_and_b32_e32 v3, s5, v3
	v_and_b32_e32 v2, s4, v2
	s_delay_alu instid0(VALU_DEP_2) | instskip(NEXT) | instid1(VALU_DEP_2)
	v_mul_lo_u32 v3, v3, 24
	v_mul_hi_u32 v4, v2, 24
	v_mul_lo_u32 v2, v2, 24
	s_delay_alu instid0(VALU_DEP_2) | instskip(NEXT) | instid1(VALU_DEP_2)
	v_add_nc_u32_e32 v3, v4, v3
	v_add_co_u32 v4, vcc_lo, v0, v2
	s_delay_alu instid0(VALU_DEP_2)
	v_add_co_ci_u32_e32 v5, vcc_lo, v1, v3, vcc_lo
	global_store_b64 v[4:5], v[14:15], off
	s_waitcnt_vscnt null, 0x0
	global_atomic_cmpswap_b64 v[2:3], v6, v[12:15], s[2:3] offset:32 glc
	s_waitcnt vmcnt(0)
	v_cmpx_ne_u64_e64 v[2:3], v[14:15]
	s_cbranch_execz .LBB6_266
; %bb.264:
	s_mov_b32 s7, 0
.LBB6_265:                              ; =>This Inner Loop Header: Depth=1
	v_dual_mov_b32 v0, s4 :: v_dual_mov_b32 v1, s5
	s_sleep 1
	global_store_b64 v[4:5], v[2:3], off
	s_waitcnt_vscnt null, 0x0
	global_atomic_cmpswap_b64 v[0:1], v6, v[0:3], s[2:3] offset:32 glc
	s_waitcnt vmcnt(0)
	v_cmp_eq_u64_e32 vcc_lo, v[0:1], v[2:3]
	v_dual_mov_b32 v3, v1 :: v_dual_mov_b32 v2, v0
	s_or_b32 s7, vcc_lo, s7
	s_delay_alu instid0(SALU_CYCLE_1)
	s_and_not1_b32 exec_lo, exec_lo, s7
	s_cbranch_execnz .LBB6_265
.LBB6_266:
	s_or_b32 exec_lo, exec_lo, s6
	v_mov_b32_e32 v3, 0
	s_mov_b32 s7, exec_lo
	s_mov_b32 s6, exec_lo
	v_mbcnt_lo_u32_b32 v2, s7, 0
	global_load_b64 v[0:1], v3, s[2:3] offset:16
	v_cmpx_eq_u32_e32 0, v2
	s_cbranch_execz .LBB6_268
; %bb.267:
	s_bcnt1_i32_b32 s7, s7
	s_delay_alu instid0(SALU_CYCLE_1)
	v_mov_b32_e32 v2, s7
	s_waitcnt vmcnt(0)
	global_atomic_add_u64 v[0:1], v[2:3], off offset:8
.LBB6_268:
	s_or_b32 exec_lo, exec_lo, s6
	s_waitcnt vmcnt(0)
	global_load_b64 v[2:3], v[0:1], off offset:16
	s_waitcnt vmcnt(0)
	v_cmp_eq_u64_e32 vcc_lo, 0, v[2:3]
	s_cbranch_vccnz .LBB6_270
; %bb.269:
	global_load_b32 v0, v[0:1], off offset:24
	s_waitcnt vmcnt(0)
	v_dual_mov_b32 v1, 0 :: v_dual_and_b32 v4, 0xffffff, v0
	s_waitcnt_vscnt null, 0x0
	global_store_b64 v[2:3], v[0:1], off
	v_readfirstlane_b32 m0, v4
	s_sendmsg sendmsg(MSG_INTERRUPT)
.LBB6_270:
	s_or_b32 exec_lo, exec_lo, s1
	s_branch .LBB6_272
.LBB6_271:
	s_branch .LBB6_276
.LBB6_272:                              ; =>This Inner Loop Header: Depth=1
	v_mov_b32_e32 v0, 1
	s_and_saveexec_b32 s1, s0
	s_cbranch_execz .LBB6_274
; %bb.273:                              ;   in Loop: Header=BB6_272 Depth=1
	global_load_b32 v0, v[8:9], off offset:20 glc
	s_waitcnt vmcnt(0)
	buffer_gl1_inv
	buffer_gl0_inv
	v_and_b32_e32 v0, 1, v0
.LBB6_274:                              ;   in Loop: Header=BB6_272 Depth=1
	s_or_b32 exec_lo, exec_lo, s1
	s_delay_alu instid0(VALU_DEP_1) | instskip(NEXT) | instid1(VALU_DEP_1)
	v_readfirstlane_b32 s1, v0
	s_cmp_eq_u32 s1, 0
	s_cbranch_scc1 .LBB6_271
; %bb.275:                              ;   in Loop: Header=BB6_272 Depth=1
	s_sleep 1
	s_cbranch_execnz .LBB6_272
.LBB6_276:
	global_load_b64 v[0:1], v[10:11], off
	s_and_saveexec_b32 s1, s0
	s_cbranch_execz .LBB6_280
; %bb.277:
	v_mov_b32_e32 v8, 0
	s_clause 0x2
	global_load_b64 v[4:5], v8, s[2:3] offset:40
	global_load_b64 v[9:10], v8, s[2:3] offset:24 glc
	global_load_b64 v[6:7], v8, s[2:3]
	s_waitcnt vmcnt(2)
	v_add_co_u32 v11, vcc_lo, v4, 1
	v_add_co_ci_u32_e32 v12, vcc_lo, 0, v5, vcc_lo
	s_delay_alu instid0(VALU_DEP_2) | instskip(NEXT) | instid1(VALU_DEP_2)
	v_add_co_u32 v2, vcc_lo, v11, s4
	v_add_co_ci_u32_e32 v3, vcc_lo, s5, v12, vcc_lo
	s_delay_alu instid0(VALU_DEP_1) | instskip(SKIP_1) | instid1(VALU_DEP_1)
	v_cmp_eq_u64_e32 vcc_lo, 0, v[2:3]
	v_dual_cndmask_b32 v3, v3, v12 :: v_dual_cndmask_b32 v2, v2, v11
	v_and_b32_e32 v5, v3, v5
	s_delay_alu instid0(VALU_DEP_2) | instskip(NEXT) | instid1(VALU_DEP_2)
	v_and_b32_e32 v4, v2, v4
	v_mul_lo_u32 v5, v5, 24
	s_delay_alu instid0(VALU_DEP_2) | instskip(SKIP_1) | instid1(VALU_DEP_2)
	v_mul_hi_u32 v11, v4, 24
	v_mul_lo_u32 v4, v4, 24
	v_add_nc_u32_e32 v5, v11, v5
	s_waitcnt vmcnt(0)
	s_delay_alu instid0(VALU_DEP_2) | instskip(SKIP_1) | instid1(VALU_DEP_3)
	v_add_co_u32 v6, vcc_lo, v6, v4
	v_mov_b32_e32 v4, v9
	v_add_co_ci_u32_e32 v7, vcc_lo, v7, v5, vcc_lo
	v_mov_b32_e32 v5, v10
	global_store_b64 v[6:7], v[9:10], off
	s_waitcnt_vscnt null, 0x0
	global_atomic_cmpswap_b64 v[4:5], v8, v[2:5], s[2:3] offset:24 glc
	s_waitcnt vmcnt(0)
	v_cmp_ne_u64_e32 vcc_lo, v[4:5], v[9:10]
	s_and_b32 exec_lo, exec_lo, vcc_lo
	s_cbranch_execz .LBB6_280
; %bb.278:
	s_mov_b32 s0, 0
.LBB6_279:                              ; =>This Inner Loop Header: Depth=1
	s_sleep 1
	global_store_b64 v[6:7], v[4:5], off
	s_waitcnt_vscnt null, 0x0
	global_atomic_cmpswap_b64 v[9:10], v8, v[2:5], s[2:3] offset:24 glc
	s_waitcnt vmcnt(0)
	v_cmp_eq_u64_e32 vcc_lo, v[9:10], v[4:5]
	v_dual_mov_b32 v4, v9 :: v_dual_mov_b32 v5, v10
	s_or_b32 s0, vcc_lo, s0
	s_delay_alu instid0(SALU_CYCLE_1)
	s_and_not1_b32 exec_lo, exec_lo, s0
	s_cbranch_execnz .LBB6_279
.LBB6_280:
	s_or_b32 exec_lo, exec_lo, s1
	s_getpc_b64 s[4:5]
	s_add_u32 s4, s4, .str.28@rel32@lo+4
	s_addc_u32 s5, s5, .str.28@rel32@hi+12
	s_delay_alu instid0(SALU_CYCLE_1)
	s_cmp_lg_u64 s[4:5], 0
	s_cbranch_scc0 .LBB6_365
; %bb.281:
	s_waitcnt vmcnt(0)
	v_dual_mov_b32 v7, v1 :: v_dual_and_b32 v6, -3, v0
	v_dual_mov_b32 v3, 0 :: v_dual_mov_b32 v4, 2
	v_mov_b32_e32 v5, 1
	s_mov_b64 s[6:7], 35
	s_branch .LBB6_283
.LBB6_282:                              ;   in Loop: Header=BB6_283 Depth=1
	s_or_b32 exec_lo, exec_lo, s1
	s_sub_u32 s6, s6, s8
	s_subb_u32 s7, s7, s9
	s_add_u32 s4, s4, s8
	s_addc_u32 s5, s5, s9
	s_cmp_lg_u64 s[6:7], 0
	s_cbranch_scc0 .LBB6_364
.LBB6_283:                              ; =>This Loop Header: Depth=1
                                        ;     Child Loop BB6_286 Depth 2
                                        ;     Child Loop BB6_291 Depth 2
                                        ;     Child Loop BB6_301 Depth 2
                                        ;     Child Loop BB6_309 Depth 2
                                        ;     Child Loop BB6_317 Depth 2
                                        ;     Child Loop BB6_325 Depth 2
                                        ;     Child Loop BB6_333 Depth 2
                                        ;     Child Loop BB6_341 Depth 2
                                        ;     Child Loop BB6_349 Depth 2
                                        ;     Child Loop BB6_356 Depth 2
                                        ;     Child Loop BB6_363 Depth 2
	v_cmp_lt_u64_e64 s0, s[6:7], 56
	v_cmp_gt_u64_e64 s1, s[6:7], 7
                                        ; implicit-def: $sgpr14
	s_delay_alu instid0(VALU_DEP_2) | instskip(SKIP_2) | instid1(VALU_DEP_1)
	s_and_b32 s0, s0, exec_lo
	s_cselect_b32 s9, s7, 0
	s_cselect_b32 s8, s6, 56
	s_and_b32 vcc_lo, exec_lo, s1
	s_mov_b32 s0, -1
	s_cbranch_vccnz .LBB6_293
; %bb.284:                              ;   in Loop: Header=BB6_283 Depth=1
	s_waitcnt vmcnt(0)
	v_mov_b32_e32 v8, 0
	v_mov_b32_e32 v9, 0
	s_cmp_eq_u64 s[6:7], 0
	s_mov_b64 s[0:1], 0
	s_cbranch_scc1 .LBB6_287
; %bb.285:                              ;   in Loop: Header=BB6_283 Depth=1
	v_mov_b32_e32 v8, 0
	v_mov_b32_e32 v9, 0
	s_lshl_b64 s[10:11], s[8:9], 3
	s_mov_b64 s[12:13], s[4:5]
.LBB6_286:                              ;   Parent Loop BB6_283 Depth=1
                                        ; =>  This Inner Loop Header: Depth=2
	global_load_u8 v2, v3, s[12:13]
	s_waitcnt vmcnt(0)
	v_and_b32_e32 v2, 0xffff, v2
	s_delay_alu instid0(VALU_DEP_1)
	v_lshlrev_b64 v[10:11], s0, v[2:3]
	s_add_u32 s0, s0, 8
	s_addc_u32 s1, s1, 0
	s_add_u32 s12, s12, 1
	s_addc_u32 s13, s13, 0
	s_cmp_lg_u32 s10, s0
	v_or_b32_e32 v8, v10, v8
	v_or_b32_e32 v9, v11, v9
	s_cbranch_scc1 .LBB6_286
.LBB6_287:                              ;   in Loop: Header=BB6_283 Depth=1
	s_mov_b32 s14, 0
	s_mov_b64 s[0:1], s[4:5]
	s_cbranch_execz .LBB6_294
.LBB6_288:                              ;   in Loop: Header=BB6_283 Depth=1
	s_cmp_gt_u32 s14, 7
	s_cbranch_scc1 .LBB6_295
.LBB6_289:                              ;   in Loop: Header=BB6_283 Depth=1
	v_mov_b32_e32 v10, 0
	v_mov_b32_e32 v11, 0
	s_cmp_eq_u32 s14, 0
	s_cbranch_scc1 .LBB6_292
; %bb.290:                              ;   in Loop: Header=BB6_283 Depth=1
	s_mov_b64 s[10:11], 0
	s_mov_b64 s[12:13], 0
.LBB6_291:                              ;   Parent Loop BB6_283 Depth=1
                                        ; =>  This Inner Loop Header: Depth=2
	s_delay_alu instid0(SALU_CYCLE_1)
	s_add_u32 vcc_lo, s0, s12
	s_addc_u32 vcc_hi, s1, s13
	s_add_u32 s12, s12, 1
	global_load_u8 v2, v3, vcc
	s_addc_u32 s13, s13, 0
	s_waitcnt vmcnt(0)
	v_and_b32_e32 v2, 0xffff, v2
	s_delay_alu instid0(VALU_DEP_1) | instskip(SKIP_3) | instid1(VALU_DEP_1)
	v_lshlrev_b64 v[12:13], s10, v[2:3]
	s_add_u32 s10, s10, 8
	s_addc_u32 s11, s11, 0
	s_cmp_lg_u32 s14, s12
	v_or_b32_e32 v10, v12, v10
	s_delay_alu instid0(VALU_DEP_2)
	v_or_b32_e32 v11, v13, v11
	s_cbranch_scc1 .LBB6_291
.LBB6_292:                              ;   in Loop: Header=BB6_283 Depth=1
	s_mov_b32 s10, 0
	s_mov_b32 s15, 0
	s_branch .LBB6_296
.LBB6_293:                              ;   in Loop: Header=BB6_283 Depth=1
	s_and_not1_b32 vcc_lo, exec_lo, s0
	s_mov_b64 s[0:1], s[4:5]
	s_cbranch_vccnz .LBB6_288
.LBB6_294:                              ;   in Loop: Header=BB6_283 Depth=1
	global_load_b64 v[8:9], v3, s[4:5]
	s_add_i32 s14, s8, -8
	s_add_u32 s0, s4, 8
	s_addc_u32 s1, s5, 0
	s_cmp_gt_u32 s14, 7
	s_cbranch_scc0 .LBB6_289
.LBB6_295:                              ;   in Loop: Header=BB6_283 Depth=1
	s_mov_b32 s10, -1
                                        ; implicit-def: $vgpr10_vgpr11
                                        ; implicit-def: $sgpr15
.LBB6_296:                              ;   in Loop: Header=BB6_283 Depth=1
	s_delay_alu instid0(SALU_CYCLE_1)
	s_and_not1_b32 vcc_lo, exec_lo, s10
	s_cbranch_vccnz .LBB6_298
; %bb.297:                              ;   in Loop: Header=BB6_283 Depth=1
	global_load_b64 v[10:11], v3, s[0:1]
	s_add_i32 s15, s14, -8
	s_add_u32 s0, s0, 8
	s_addc_u32 s1, s1, 0
.LBB6_298:                              ;   in Loop: Header=BB6_283 Depth=1
	s_cmp_gt_u32 s15, 7
	s_cbranch_scc1 .LBB6_303
; %bb.299:                              ;   in Loop: Header=BB6_283 Depth=1
	v_mov_b32_e32 v12, 0
	v_mov_b32_e32 v13, 0
	s_cmp_eq_u32 s15, 0
	s_cbranch_scc1 .LBB6_302
; %bb.300:                              ;   in Loop: Header=BB6_283 Depth=1
	s_mov_b64 s[10:11], 0
	s_mov_b64 s[12:13], 0
.LBB6_301:                              ;   Parent Loop BB6_283 Depth=1
                                        ; =>  This Inner Loop Header: Depth=2
	s_delay_alu instid0(SALU_CYCLE_1)
	s_add_u32 vcc_lo, s0, s12
	s_addc_u32 vcc_hi, s1, s13
	s_add_u32 s12, s12, 1
	global_load_u8 v2, v3, vcc
	s_addc_u32 s13, s13, 0
	s_waitcnt vmcnt(0)
	v_and_b32_e32 v2, 0xffff, v2
	s_delay_alu instid0(VALU_DEP_1) | instskip(SKIP_3) | instid1(VALU_DEP_1)
	v_lshlrev_b64 v[14:15], s10, v[2:3]
	s_add_u32 s10, s10, 8
	s_addc_u32 s11, s11, 0
	s_cmp_lg_u32 s15, s12
	v_or_b32_e32 v12, v14, v12
	s_delay_alu instid0(VALU_DEP_2)
	v_or_b32_e32 v13, v15, v13
	s_cbranch_scc1 .LBB6_301
.LBB6_302:                              ;   in Loop: Header=BB6_283 Depth=1
	s_mov_b32 s10, 0
	s_mov_b32 s14, 0
	s_branch .LBB6_304
.LBB6_303:                              ;   in Loop: Header=BB6_283 Depth=1
	s_mov_b32 s10, -1
                                        ; implicit-def: $sgpr14
.LBB6_304:                              ;   in Loop: Header=BB6_283 Depth=1
	s_delay_alu instid0(SALU_CYCLE_1)
	s_and_not1_b32 vcc_lo, exec_lo, s10
	s_cbranch_vccnz .LBB6_306
; %bb.305:                              ;   in Loop: Header=BB6_283 Depth=1
	global_load_b64 v[12:13], v3, s[0:1]
	s_add_i32 s14, s15, -8
	s_add_u32 s0, s0, 8
	s_addc_u32 s1, s1, 0
.LBB6_306:                              ;   in Loop: Header=BB6_283 Depth=1
	s_cmp_gt_u32 s14, 7
	s_cbranch_scc1 .LBB6_311
; %bb.307:                              ;   in Loop: Header=BB6_283 Depth=1
	v_mov_b32_e32 v14, 0
	v_mov_b32_e32 v15, 0
	s_cmp_eq_u32 s14, 0
	s_cbranch_scc1 .LBB6_310
; %bb.308:                              ;   in Loop: Header=BB6_283 Depth=1
	s_mov_b64 s[10:11], 0
	s_mov_b64 s[12:13], 0
.LBB6_309:                              ;   Parent Loop BB6_283 Depth=1
                                        ; =>  This Inner Loop Header: Depth=2
	s_delay_alu instid0(SALU_CYCLE_1)
	s_add_u32 vcc_lo, s0, s12
	s_addc_u32 vcc_hi, s1, s13
	s_add_u32 s12, s12, 1
	global_load_u8 v2, v3, vcc
	s_addc_u32 s13, s13, 0
	s_waitcnt vmcnt(0)
	v_and_b32_e32 v2, 0xffff, v2
	s_delay_alu instid0(VALU_DEP_1) | instskip(SKIP_3) | instid1(VALU_DEP_1)
	v_lshlrev_b64 v[16:17], s10, v[2:3]
	s_add_u32 s10, s10, 8
	s_addc_u32 s11, s11, 0
	s_cmp_lg_u32 s14, s12
	v_or_b32_e32 v14, v16, v14
	s_delay_alu instid0(VALU_DEP_2)
	v_or_b32_e32 v15, v17, v15
	s_cbranch_scc1 .LBB6_309
.LBB6_310:                              ;   in Loop: Header=BB6_283 Depth=1
	s_mov_b32 s10, 0
	s_mov_b32 s15, 0
	s_branch .LBB6_312
.LBB6_311:                              ;   in Loop: Header=BB6_283 Depth=1
	s_mov_b32 s10, -1
                                        ; implicit-def: $vgpr14_vgpr15
                                        ; implicit-def: $sgpr15
.LBB6_312:                              ;   in Loop: Header=BB6_283 Depth=1
	s_delay_alu instid0(SALU_CYCLE_1)
	s_and_not1_b32 vcc_lo, exec_lo, s10
	s_cbranch_vccnz .LBB6_314
; %bb.313:                              ;   in Loop: Header=BB6_283 Depth=1
	global_load_b64 v[14:15], v3, s[0:1]
	s_add_i32 s15, s14, -8
	s_add_u32 s0, s0, 8
	s_addc_u32 s1, s1, 0
.LBB6_314:                              ;   in Loop: Header=BB6_283 Depth=1
	s_cmp_gt_u32 s15, 7
	s_cbranch_scc1 .LBB6_319
; %bb.315:                              ;   in Loop: Header=BB6_283 Depth=1
	v_mov_b32_e32 v16, 0
	v_mov_b32_e32 v17, 0
	s_cmp_eq_u32 s15, 0
	s_cbranch_scc1 .LBB6_318
; %bb.316:                              ;   in Loop: Header=BB6_283 Depth=1
	s_mov_b64 s[10:11], 0
	s_mov_b64 s[12:13], 0
.LBB6_317:                              ;   Parent Loop BB6_283 Depth=1
                                        ; =>  This Inner Loop Header: Depth=2
	s_delay_alu instid0(SALU_CYCLE_1)
	s_add_u32 vcc_lo, s0, s12
	s_addc_u32 vcc_hi, s1, s13
	s_add_u32 s12, s12, 1
	global_load_u8 v2, v3, vcc
	s_addc_u32 s13, s13, 0
	s_waitcnt vmcnt(0)
	v_and_b32_e32 v2, 0xffff, v2
	s_delay_alu instid0(VALU_DEP_1) | instskip(SKIP_3) | instid1(VALU_DEP_1)
	v_lshlrev_b64 v[18:19], s10, v[2:3]
	s_add_u32 s10, s10, 8
	s_addc_u32 s11, s11, 0
	s_cmp_lg_u32 s15, s12
	v_or_b32_e32 v16, v18, v16
	s_delay_alu instid0(VALU_DEP_2)
	v_or_b32_e32 v17, v19, v17
	s_cbranch_scc1 .LBB6_317
.LBB6_318:                              ;   in Loop: Header=BB6_283 Depth=1
	s_mov_b32 s10, 0
	s_mov_b32 s14, 0
	s_branch .LBB6_320
.LBB6_319:                              ;   in Loop: Header=BB6_283 Depth=1
	s_mov_b32 s10, -1
                                        ; implicit-def: $sgpr14
.LBB6_320:                              ;   in Loop: Header=BB6_283 Depth=1
	s_delay_alu instid0(SALU_CYCLE_1)
	s_and_not1_b32 vcc_lo, exec_lo, s10
	s_cbranch_vccnz .LBB6_322
; %bb.321:                              ;   in Loop: Header=BB6_283 Depth=1
	global_load_b64 v[16:17], v3, s[0:1]
	s_add_i32 s14, s15, -8
	s_add_u32 s0, s0, 8
	s_addc_u32 s1, s1, 0
.LBB6_322:                              ;   in Loop: Header=BB6_283 Depth=1
	s_cmp_gt_u32 s14, 7
	s_cbranch_scc1 .LBB6_327
; %bb.323:                              ;   in Loop: Header=BB6_283 Depth=1
	v_mov_b32_e32 v18, 0
	v_mov_b32_e32 v19, 0
	s_cmp_eq_u32 s14, 0
	s_cbranch_scc1 .LBB6_326
; %bb.324:                              ;   in Loop: Header=BB6_283 Depth=1
	s_mov_b64 s[10:11], 0
	s_mov_b64 s[12:13], 0
.LBB6_325:                              ;   Parent Loop BB6_283 Depth=1
                                        ; =>  This Inner Loop Header: Depth=2
	s_delay_alu instid0(SALU_CYCLE_1)
	s_add_u32 vcc_lo, s0, s12
	s_addc_u32 vcc_hi, s1, s13
	s_add_u32 s12, s12, 1
	global_load_u8 v2, v3, vcc
	s_addc_u32 s13, s13, 0
	s_waitcnt vmcnt(0)
	v_and_b32_e32 v2, 0xffff, v2
	s_delay_alu instid0(VALU_DEP_1) | instskip(SKIP_3) | instid1(VALU_DEP_1)
	v_lshlrev_b64 v[20:21], s10, v[2:3]
	s_add_u32 s10, s10, 8
	s_addc_u32 s11, s11, 0
	s_cmp_lg_u32 s14, s12
	v_or_b32_e32 v18, v20, v18
	s_delay_alu instid0(VALU_DEP_2)
	v_or_b32_e32 v19, v21, v19
	s_cbranch_scc1 .LBB6_325
.LBB6_326:                              ;   in Loop: Header=BB6_283 Depth=1
	s_mov_b32 s10, 0
	s_mov_b32 s15, 0
	s_branch .LBB6_328
.LBB6_327:                              ;   in Loop: Header=BB6_283 Depth=1
	s_mov_b32 s10, -1
                                        ; implicit-def: $vgpr18_vgpr19
                                        ; implicit-def: $sgpr15
.LBB6_328:                              ;   in Loop: Header=BB6_283 Depth=1
	s_delay_alu instid0(SALU_CYCLE_1)
	s_and_not1_b32 vcc_lo, exec_lo, s10
	s_cbranch_vccnz .LBB6_330
; %bb.329:                              ;   in Loop: Header=BB6_283 Depth=1
	global_load_b64 v[18:19], v3, s[0:1]
	s_add_i32 s15, s14, -8
	s_add_u32 s0, s0, 8
	s_addc_u32 s1, s1, 0
.LBB6_330:                              ;   in Loop: Header=BB6_283 Depth=1
	s_cmp_gt_u32 s15, 7
	s_cbranch_scc1 .LBB6_335
; %bb.331:                              ;   in Loop: Header=BB6_283 Depth=1
	v_mov_b32_e32 v20, 0
	v_mov_b32_e32 v21, 0
	s_cmp_eq_u32 s15, 0
	s_cbranch_scc1 .LBB6_334
; %bb.332:                              ;   in Loop: Header=BB6_283 Depth=1
	s_mov_b64 s[10:11], 0
	s_mov_b64 s[12:13], s[0:1]
.LBB6_333:                              ;   Parent Loop BB6_283 Depth=1
                                        ; =>  This Inner Loop Header: Depth=2
	global_load_u8 v2, v3, s[12:13]
	s_add_i32 s15, s15, -1
	s_waitcnt vmcnt(0)
	v_and_b32_e32 v2, 0xffff, v2
	s_delay_alu instid0(VALU_DEP_1)
	v_lshlrev_b64 v[22:23], s10, v[2:3]
	s_add_u32 s10, s10, 8
	s_addc_u32 s11, s11, 0
	s_add_u32 s12, s12, 1
	s_addc_u32 s13, s13, 0
	s_cmp_lg_u32 s15, 0
	v_or_b32_e32 v20, v22, v20
	v_or_b32_e32 v21, v23, v21
	s_cbranch_scc1 .LBB6_333
.LBB6_334:                              ;   in Loop: Header=BB6_283 Depth=1
	s_mov_b32 s10, 0
	s_branch .LBB6_336
.LBB6_335:                              ;   in Loop: Header=BB6_283 Depth=1
	s_mov_b32 s10, -1
.LBB6_336:                              ;   in Loop: Header=BB6_283 Depth=1
	s_delay_alu instid0(SALU_CYCLE_1)
	s_and_not1_b32 vcc_lo, exec_lo, s10
	s_cbranch_vccnz .LBB6_338
; %bb.337:                              ;   in Loop: Header=BB6_283 Depth=1
	global_load_b64 v[20:21], v3, s[0:1]
.LBB6_338:                              ;   in Loop: Header=BB6_283 Depth=1
	v_readfirstlane_b32 s0, v29
	v_mov_b32_e32 v26, 0
	v_mov_b32_e32 v27, 0
	s_delay_alu instid0(VALU_DEP_3) | instskip(NEXT) | instid1(VALU_DEP_1)
	v_cmp_eq_u32_e64 s0, s0, v29
	s_and_saveexec_b32 s1, s0
	s_cbranch_execz .LBB6_344
; %bb.339:                              ;   in Loop: Header=BB6_283 Depth=1
	global_load_b64 v[24:25], v3, s[2:3] offset:24 glc
	s_waitcnt vmcnt(0)
	buffer_gl1_inv
	buffer_gl0_inv
	s_clause 0x1
	global_load_b64 v[22:23], v3, s[2:3] offset:40
	global_load_b64 v[26:27], v3, s[2:3]
	s_mov_b32 s10, exec_lo
	s_waitcnt vmcnt(1)
	v_and_b32_e32 v2, v23, v25
	v_and_b32_e32 v22, v22, v24
	s_delay_alu instid0(VALU_DEP_2) | instskip(NEXT) | instid1(VALU_DEP_2)
	v_mul_lo_u32 v2, v2, 24
	v_mul_hi_u32 v23, v22, 24
	v_mul_lo_u32 v22, v22, 24
	s_delay_alu instid0(VALU_DEP_2) | instskip(SKIP_1) | instid1(VALU_DEP_2)
	v_add_nc_u32_e32 v2, v23, v2
	s_waitcnt vmcnt(0)
	v_add_co_u32 v22, vcc_lo, v26, v22
	s_delay_alu instid0(VALU_DEP_2)
	v_add_co_ci_u32_e32 v23, vcc_lo, v27, v2, vcc_lo
	global_load_b64 v[22:23], v[22:23], off glc
	s_waitcnt vmcnt(0)
	global_atomic_cmpswap_b64 v[26:27], v3, v[22:25], s[2:3] offset:24 glc
	s_waitcnt vmcnt(0)
	buffer_gl1_inv
	buffer_gl0_inv
	v_cmpx_ne_u64_e64 v[26:27], v[24:25]
	s_cbranch_execz .LBB6_343
; %bb.340:                              ;   in Loop: Header=BB6_283 Depth=1
	s_mov_b32 s11, 0
.LBB6_341:                              ;   Parent Loop BB6_283 Depth=1
                                        ; =>  This Inner Loop Header: Depth=2
	s_sleep 1
	s_clause 0x1
	global_load_b64 v[22:23], v3, s[2:3] offset:40
	global_load_b64 v[30:31], v3, s[2:3]
	v_dual_mov_b32 v24, v26 :: v_dual_mov_b32 v25, v27
	s_waitcnt vmcnt(1)
	s_delay_alu instid0(VALU_DEP_1) | instskip(SKIP_1) | instid1(VALU_DEP_1)
	v_and_b32_e32 v2, v22, v24
	s_waitcnt vmcnt(0)
	v_mad_u64_u32 v[26:27], null, v2, 24, v[30:31]
	v_and_b32_e32 v30, v23, v25
	s_delay_alu instid0(VALU_DEP_2) | instskip(NEXT) | instid1(VALU_DEP_1)
	v_mov_b32_e32 v2, v27
	v_mad_u64_u32 v[22:23], null, v30, 24, v[2:3]
	s_delay_alu instid0(VALU_DEP_1)
	v_mov_b32_e32 v27, v22
	global_load_b64 v[22:23], v[26:27], off glc
	s_waitcnt vmcnt(0)
	global_atomic_cmpswap_b64 v[26:27], v3, v[22:25], s[2:3] offset:24 glc
	s_waitcnt vmcnt(0)
	buffer_gl1_inv
	buffer_gl0_inv
	v_cmp_eq_u64_e32 vcc_lo, v[26:27], v[24:25]
	s_or_b32 s11, vcc_lo, s11
	s_delay_alu instid0(SALU_CYCLE_1)
	s_and_not1_b32 exec_lo, exec_lo, s11
	s_cbranch_execnz .LBB6_341
; %bb.342:                              ;   in Loop: Header=BB6_283 Depth=1
	s_or_b32 exec_lo, exec_lo, s11
.LBB6_343:                              ;   in Loop: Header=BB6_283 Depth=1
	s_delay_alu instid0(SALU_CYCLE_1)
	s_or_b32 exec_lo, exec_lo, s10
.LBB6_344:                              ;   in Loop: Header=BB6_283 Depth=1
	s_delay_alu instid0(SALU_CYCLE_1)
	s_or_b32 exec_lo, exec_lo, s1
	s_clause 0x1
	global_load_b64 v[30:31], v3, s[2:3] offset:40
	global_load_b128 v[22:25], v3, s[2:3]
	v_readfirstlane_b32 s10, v26
	v_readfirstlane_b32 s11, v27
	s_mov_b32 s1, exec_lo
	s_waitcnt vmcnt(1)
	v_readfirstlane_b32 s12, v30
	v_readfirstlane_b32 s13, v31
	s_delay_alu instid0(VALU_DEP_1) | instskip(NEXT) | instid1(SALU_CYCLE_1)
	s_and_b64 s[12:13], s[10:11], s[12:13]
	s_mul_i32 s14, s13, 24
	s_mul_hi_u32 s15, s12, 24
	s_mul_i32 s16, s12, 24
	s_add_i32 s15, s15, s14
	s_waitcnt vmcnt(0)
	v_add_co_u32 v26, vcc_lo, v22, s16
	v_add_co_ci_u32_e32 v27, vcc_lo, s15, v23, vcc_lo
	s_and_saveexec_b32 s14, s0
	s_cbranch_execz .LBB6_346
; %bb.345:                              ;   in Loop: Header=BB6_283 Depth=1
	v_mov_b32_e32 v2, s1
	global_store_b128 v[26:27], v[2:5], off offset:8
.LBB6_346:                              ;   in Loop: Header=BB6_283 Depth=1
	s_or_b32 exec_lo, exec_lo, s14
	s_lshl_b64 s[12:13], s[12:13], 12
	v_or_b32_e32 v2, 2, v6
	v_add_co_u32 v24, vcc_lo, v24, s12
	v_add_co_ci_u32_e32 v25, vcc_lo, s13, v25, vcc_lo
	v_cmp_gt_u64_e64 vcc_lo, s[6:7], 56
	s_lshl_b32 s1, s8, 2
	s_delay_alu instid0(VALU_DEP_3) | instskip(SKIP_4) | instid1(VALU_DEP_1)
	v_readfirstlane_b32 s12, v24
	s_add_i32 s1, s1, 28
	v_readfirstlane_b32 s13, v25
	s_and_b32 s1, s1, 0x1e0
	v_cndmask_b32_e32 v2, v2, v6, vcc_lo
	v_and_or_b32 v6, 0xffffff1f, v2, s1
	s_clause 0x3
	global_store_b128 v28, v[6:9], s[12:13]
	global_store_b128 v28, v[10:13], s[12:13] offset:16
	global_store_b128 v28, v[14:17], s[12:13] offset:32
	;; [unrolled: 1-line block ×3, first 2 shown]
	s_and_saveexec_b32 s1, s0
	s_cbranch_execz .LBB6_354
; %bb.347:                              ;   in Loop: Header=BB6_283 Depth=1
	s_clause 0x1
	global_load_b64 v[14:15], v3, s[2:3] offset:32 glc
	global_load_b64 v[6:7], v3, s[2:3] offset:40
	v_dual_mov_b32 v12, s10 :: v_dual_mov_b32 v13, s11
	s_waitcnt vmcnt(0)
	v_readfirstlane_b32 s12, v6
	v_readfirstlane_b32 s13, v7
	s_delay_alu instid0(VALU_DEP_1) | instskip(NEXT) | instid1(SALU_CYCLE_1)
	s_and_b64 s[12:13], s[12:13], s[10:11]
	s_mul_i32 s13, s13, 24
	s_mul_hi_u32 s14, s12, 24
	s_mul_i32 s12, s12, 24
	s_add_i32 s14, s14, s13
	v_add_co_u32 v10, vcc_lo, v22, s12
	v_add_co_ci_u32_e32 v11, vcc_lo, s14, v23, vcc_lo
	s_mov_b32 s12, exec_lo
	global_store_b64 v[10:11], v[14:15], off
	s_waitcnt_vscnt null, 0x0
	global_atomic_cmpswap_b64 v[8:9], v3, v[12:15], s[2:3] offset:32 glc
	s_waitcnt vmcnt(0)
	v_cmpx_ne_u64_e64 v[8:9], v[14:15]
	s_cbranch_execz .LBB6_350
; %bb.348:                              ;   in Loop: Header=BB6_283 Depth=1
	s_mov_b32 s13, 0
.LBB6_349:                              ;   Parent Loop BB6_283 Depth=1
                                        ; =>  This Inner Loop Header: Depth=2
	v_dual_mov_b32 v6, s10 :: v_dual_mov_b32 v7, s11
	s_sleep 1
	global_store_b64 v[10:11], v[8:9], off
	s_waitcnt_vscnt null, 0x0
	global_atomic_cmpswap_b64 v[6:7], v3, v[6:9], s[2:3] offset:32 glc
	s_waitcnt vmcnt(0)
	v_cmp_eq_u64_e32 vcc_lo, v[6:7], v[8:9]
	v_dual_mov_b32 v9, v7 :: v_dual_mov_b32 v8, v6
	s_or_b32 s13, vcc_lo, s13
	s_delay_alu instid0(SALU_CYCLE_1)
	s_and_not1_b32 exec_lo, exec_lo, s13
	s_cbranch_execnz .LBB6_349
.LBB6_350:                              ;   in Loop: Header=BB6_283 Depth=1
	s_or_b32 exec_lo, exec_lo, s12
	global_load_b64 v[6:7], v3, s[2:3] offset:16
	s_mov_b32 s13, exec_lo
	s_mov_b32 s12, exec_lo
	v_mbcnt_lo_u32_b32 v2, s13, 0
	s_delay_alu instid0(VALU_DEP_1)
	v_cmpx_eq_u32_e32 0, v2
	s_cbranch_execz .LBB6_352
; %bb.351:                              ;   in Loop: Header=BB6_283 Depth=1
	s_bcnt1_i32_b32 s13, s13
	s_delay_alu instid0(SALU_CYCLE_1)
	v_mov_b32_e32 v2, s13
	s_waitcnt vmcnt(0)
	global_atomic_add_u64 v[6:7], v[2:3], off offset:8
.LBB6_352:                              ;   in Loop: Header=BB6_283 Depth=1
	s_or_b32 exec_lo, exec_lo, s12
	s_waitcnt vmcnt(0)
	global_load_b64 v[8:9], v[6:7], off offset:16
	s_waitcnt vmcnt(0)
	v_cmp_eq_u64_e32 vcc_lo, 0, v[8:9]
	s_cbranch_vccnz .LBB6_354
; %bb.353:                              ;   in Loop: Header=BB6_283 Depth=1
	global_load_b32 v2, v[6:7], off offset:24
	s_waitcnt vmcnt(0)
	v_and_b32_e32 v6, 0xffffff, v2
	s_waitcnt_vscnt null, 0x0
	global_store_b64 v[8:9], v[2:3], off
	v_readfirstlane_b32 m0, v6
	s_sendmsg sendmsg(MSG_INTERRUPT)
.LBB6_354:                              ;   in Loop: Header=BB6_283 Depth=1
	s_or_b32 exec_lo, exec_lo, s1
	v_add_co_u32 v6, vcc_lo, v24, v28
	v_add_co_ci_u32_e32 v7, vcc_lo, 0, v25, vcc_lo
	s_branch .LBB6_356
	.p2align	6
.LBB6_355:                              ;   in Loop: Header=BB6_283 Depth=1
	s_branch .LBB6_360
.LBB6_356:                              ;   Parent Loop BB6_283 Depth=1
                                        ; =>  This Inner Loop Header: Depth=2
	v_mov_b32_e32 v2, 1
	s_and_saveexec_b32 s1, s0
	s_cbranch_execz .LBB6_358
; %bb.357:                              ;   in Loop: Header=BB6_356 Depth=2
	global_load_b32 v2, v[26:27], off offset:20 glc
	s_waitcnt vmcnt(0)
	buffer_gl1_inv
	buffer_gl0_inv
	v_and_b32_e32 v2, 1, v2
.LBB6_358:                              ;   in Loop: Header=BB6_356 Depth=2
	s_or_b32 exec_lo, exec_lo, s1
	s_delay_alu instid0(VALU_DEP_1) | instskip(NEXT) | instid1(VALU_DEP_1)
	v_readfirstlane_b32 s1, v2
	s_cmp_eq_u32 s1, 0
	s_cbranch_scc1 .LBB6_355
; %bb.359:                              ;   in Loop: Header=BB6_356 Depth=2
	s_sleep 1
	s_cbranch_execnz .LBB6_356
.LBB6_360:                              ;   in Loop: Header=BB6_283 Depth=1
	global_load_b128 v[6:9], v[6:7], off
	s_and_saveexec_b32 s1, s0
	s_cbranch_execz .LBB6_282
; %bb.361:                              ;   in Loop: Header=BB6_283 Depth=1
	s_clause 0x2
	global_load_b64 v[10:11], v3, s[2:3] offset:40
	global_load_b64 v[14:15], v3, s[2:3] offset:24 glc
	global_load_b64 v[12:13], v3, s[2:3]
	s_waitcnt vmcnt(2)
	v_add_co_u32 v2, vcc_lo, v10, 1
	v_add_co_ci_u32_e32 v16, vcc_lo, 0, v11, vcc_lo
	s_delay_alu instid0(VALU_DEP_2) | instskip(NEXT) | instid1(VALU_DEP_2)
	v_add_co_u32 v8, vcc_lo, v2, s10
	v_add_co_ci_u32_e32 v9, vcc_lo, s11, v16, vcc_lo
	s_delay_alu instid0(VALU_DEP_1) | instskip(SKIP_1) | instid1(VALU_DEP_1)
	v_cmp_eq_u64_e32 vcc_lo, 0, v[8:9]
	v_dual_cndmask_b32 v9, v9, v16 :: v_dual_cndmask_b32 v8, v8, v2
	v_and_b32_e32 v2, v9, v11
	s_delay_alu instid0(VALU_DEP_2) | instskip(NEXT) | instid1(VALU_DEP_2)
	v_and_b32_e32 v10, v8, v10
	v_mul_lo_u32 v2, v2, 24
	s_delay_alu instid0(VALU_DEP_2) | instskip(SKIP_1) | instid1(VALU_DEP_2)
	v_mul_hi_u32 v11, v10, 24
	v_mul_lo_u32 v10, v10, 24
	v_add_nc_u32_e32 v2, v11, v2
	s_waitcnt vmcnt(1)
	v_mov_b32_e32 v11, v15
	s_waitcnt vmcnt(0)
	s_delay_alu instid0(VALU_DEP_3)
	v_add_co_u32 v12, vcc_lo, v12, v10
	v_mov_b32_e32 v10, v14
	v_add_co_ci_u32_e32 v13, vcc_lo, v13, v2, vcc_lo
	global_store_b64 v[12:13], v[14:15], off
	s_waitcnt_vscnt null, 0x0
	global_atomic_cmpswap_b64 v[10:11], v3, v[8:11], s[2:3] offset:24 glc
	s_waitcnt vmcnt(0)
	v_cmp_ne_u64_e32 vcc_lo, v[10:11], v[14:15]
	s_and_b32 exec_lo, exec_lo, vcc_lo
	s_cbranch_execz .LBB6_282
; %bb.362:                              ;   in Loop: Header=BB6_283 Depth=1
	s_mov_b32 s0, 0
.LBB6_363:                              ;   Parent Loop BB6_283 Depth=1
                                        ; =>  This Inner Loop Header: Depth=2
	s_sleep 1
	global_store_b64 v[12:13], v[10:11], off
	s_waitcnt_vscnt null, 0x0
	global_atomic_cmpswap_b64 v[14:15], v3, v[8:11], s[2:3] offset:24 glc
	s_waitcnt vmcnt(0)
	v_cmp_eq_u64_e32 vcc_lo, v[14:15], v[10:11]
	v_dual_mov_b32 v10, v14 :: v_dual_mov_b32 v11, v15
	s_or_b32 s0, vcc_lo, s0
	s_delay_alu instid0(SALU_CYCLE_1)
	s_and_not1_b32 exec_lo, exec_lo, s0
	s_cbranch_execnz .LBB6_363
	s_branch .LBB6_282
.LBB6_364:
	s_mov_b32 s0, 0
	s_branch .LBB6_366
.LBB6_365:
	s_mov_b32 s0, -1
.LBB6_366:
	s_delay_alu instid0(SALU_CYCLE_1)
	s_and_b32 vcc_lo, exec_lo, s0
	s_cbranch_vccz .LBB6_394
; %bb.367:
	v_readfirstlane_b32 s0, v29
	s_waitcnt vmcnt(0)
	v_mov_b32_e32 v8, 0
	v_mov_b32_e32 v9, 0
	s_delay_alu instid0(VALU_DEP_3) | instskip(NEXT) | instid1(VALU_DEP_1)
	v_cmp_eq_u32_e64 s0, s0, v29
	s_and_saveexec_b32 s1, s0
	s_cbranch_execz .LBB6_373
; %bb.368:
	v_mov_b32_e32 v2, 0
	s_mov_b32 s4, exec_lo
	global_load_b64 v[5:6], v2, s[2:3] offset:24 glc
	s_waitcnt vmcnt(0)
	buffer_gl1_inv
	buffer_gl0_inv
	s_clause 0x1
	global_load_b64 v[3:4], v2, s[2:3] offset:40
	global_load_b64 v[7:8], v2, s[2:3]
	s_waitcnt vmcnt(1)
	v_and_b32_e32 v3, v3, v5
	v_and_b32_e32 v4, v4, v6
	s_delay_alu instid0(VALU_DEP_2) | instskip(NEXT) | instid1(VALU_DEP_2)
	v_mul_hi_u32 v9, v3, 24
	v_mul_lo_u32 v4, v4, 24
	v_mul_lo_u32 v3, v3, 24
	s_delay_alu instid0(VALU_DEP_2) | instskip(SKIP_1) | instid1(VALU_DEP_2)
	v_add_nc_u32_e32 v4, v9, v4
	s_waitcnt vmcnt(0)
	v_add_co_u32 v3, vcc_lo, v7, v3
	s_delay_alu instid0(VALU_DEP_2)
	v_add_co_ci_u32_e32 v4, vcc_lo, v8, v4, vcc_lo
	global_load_b64 v[3:4], v[3:4], off glc
	s_waitcnt vmcnt(0)
	global_atomic_cmpswap_b64 v[8:9], v2, v[3:6], s[2:3] offset:24 glc
	s_waitcnt vmcnt(0)
	buffer_gl1_inv
	buffer_gl0_inv
	v_cmpx_ne_u64_e64 v[8:9], v[5:6]
	s_cbranch_execz .LBB6_372
; %bb.369:
	s_mov_b32 s5, 0
.LBB6_370:                              ; =>This Inner Loop Header: Depth=1
	s_sleep 1
	s_clause 0x1
	global_load_b64 v[3:4], v2, s[2:3] offset:40
	global_load_b64 v[10:11], v2, s[2:3]
	v_dual_mov_b32 v5, v8 :: v_dual_mov_b32 v6, v9
	s_waitcnt vmcnt(1)
	s_delay_alu instid0(VALU_DEP_1) | instskip(NEXT) | instid1(VALU_DEP_2)
	v_and_b32_e32 v3, v3, v5
	v_and_b32_e32 v4, v4, v6
	s_waitcnt vmcnt(0)
	s_delay_alu instid0(VALU_DEP_2) | instskip(NEXT) | instid1(VALU_DEP_1)
	v_mad_u64_u32 v[7:8], null, v3, 24, v[10:11]
	v_mov_b32_e32 v3, v8
	s_delay_alu instid0(VALU_DEP_1)
	v_mad_u64_u32 v[8:9], null, v4, 24, v[3:4]
	global_load_b64 v[3:4], v[7:8], off glc
	s_waitcnt vmcnt(0)
	global_atomic_cmpswap_b64 v[8:9], v2, v[3:6], s[2:3] offset:24 glc
	s_waitcnt vmcnt(0)
	buffer_gl1_inv
	buffer_gl0_inv
	v_cmp_eq_u64_e32 vcc_lo, v[8:9], v[5:6]
	s_or_b32 s5, vcc_lo, s5
	s_delay_alu instid0(SALU_CYCLE_1)
	s_and_not1_b32 exec_lo, exec_lo, s5
	s_cbranch_execnz .LBB6_370
; %bb.371:
	s_or_b32 exec_lo, exec_lo, s5
.LBB6_372:
	s_delay_alu instid0(SALU_CYCLE_1)
	s_or_b32 exec_lo, exec_lo, s4
.LBB6_373:
	s_delay_alu instid0(SALU_CYCLE_1)
	s_or_b32 exec_lo, exec_lo, s1
	v_mov_b32_e32 v2, 0
	v_readfirstlane_b32 s4, v8
	v_readfirstlane_b32 s5, v9
	s_mov_b32 s1, exec_lo
	s_clause 0x1
	global_load_b64 v[10:11], v2, s[2:3] offset:40
	global_load_b128 v[4:7], v2, s[2:3]
	s_waitcnt vmcnt(1)
	v_readfirstlane_b32 s6, v10
	v_readfirstlane_b32 s7, v11
	s_delay_alu instid0(VALU_DEP_1) | instskip(NEXT) | instid1(SALU_CYCLE_1)
	s_and_b64 s[6:7], s[4:5], s[6:7]
	s_mul_i32 s8, s7, 24
	s_mul_hi_u32 s9, s6, 24
	s_mul_i32 s10, s6, 24
	s_add_i32 s9, s9, s8
	s_waitcnt vmcnt(0)
	v_add_co_u32 v8, vcc_lo, v4, s10
	v_add_co_ci_u32_e32 v9, vcc_lo, s9, v5, vcc_lo
	s_and_saveexec_b32 s8, s0
	s_cbranch_execz .LBB6_375
; %bb.374:
	v_dual_mov_b32 v10, s1 :: v_dual_mov_b32 v11, v2
	v_dual_mov_b32 v12, 2 :: v_dual_mov_b32 v13, 1
	global_store_b128 v[8:9], v[10:13], off offset:8
.LBB6_375:
	s_or_b32 exec_lo, exec_lo, s8
	s_lshl_b64 s[6:7], s[6:7], 12
	s_mov_b32 s8, 0
	v_add_co_u32 v6, vcc_lo, v6, s6
	v_add_co_ci_u32_e32 v7, vcc_lo, s7, v7, vcc_lo
	s_mov_b32 s11, s8
	s_mov_b32 s9, s8
	;; [unrolled: 1-line block ×3, first 2 shown]
	v_and_or_b32 v0, 0xffffff1d, v0, 34
	v_mov_b32_e32 v3, v2
	v_readfirstlane_b32 s6, v6
	v_readfirstlane_b32 s7, v7
	v_dual_mov_b32 v13, s11 :: v_dual_mov_b32 v10, s8
	v_dual_mov_b32 v12, s10 :: v_dual_mov_b32 v11, s9
	s_clause 0x3
	global_store_b128 v28, v[0:3], s[6:7]
	global_store_b128 v28, v[10:13], s[6:7] offset:16
	global_store_b128 v28, v[10:13], s[6:7] offset:32
	global_store_b128 v28, v[10:13], s[6:7] offset:48
	s_and_saveexec_b32 s1, s0
	s_cbranch_execz .LBB6_383
; %bb.376:
	v_dual_mov_b32 v6, 0 :: v_dual_mov_b32 v11, s5
	v_mov_b32_e32 v10, s4
	s_clause 0x1
	global_load_b64 v[12:13], v6, s[2:3] offset:32 glc
	global_load_b64 v[0:1], v6, s[2:3] offset:40
	s_waitcnt vmcnt(0)
	v_readfirstlane_b32 s6, v0
	v_readfirstlane_b32 s7, v1
	s_delay_alu instid0(VALU_DEP_1) | instskip(NEXT) | instid1(SALU_CYCLE_1)
	s_and_b64 s[6:7], s[6:7], s[4:5]
	s_mul_i32 s7, s7, 24
	s_mul_hi_u32 s8, s6, 24
	s_mul_i32 s6, s6, 24
	s_add_i32 s8, s8, s7
	v_add_co_u32 v4, vcc_lo, v4, s6
	v_add_co_ci_u32_e32 v5, vcc_lo, s8, v5, vcc_lo
	s_mov_b32 s6, exec_lo
	global_store_b64 v[4:5], v[12:13], off
	s_waitcnt_vscnt null, 0x0
	global_atomic_cmpswap_b64 v[2:3], v6, v[10:13], s[2:3] offset:32 glc
	s_waitcnt vmcnt(0)
	v_cmpx_ne_u64_e64 v[2:3], v[12:13]
	s_cbranch_execz .LBB6_379
; %bb.377:
	s_mov_b32 s7, 0
.LBB6_378:                              ; =>This Inner Loop Header: Depth=1
	v_dual_mov_b32 v0, s4 :: v_dual_mov_b32 v1, s5
	s_sleep 1
	global_store_b64 v[4:5], v[2:3], off
	s_waitcnt_vscnt null, 0x0
	global_atomic_cmpswap_b64 v[0:1], v6, v[0:3], s[2:3] offset:32 glc
	s_waitcnt vmcnt(0)
	v_cmp_eq_u64_e32 vcc_lo, v[0:1], v[2:3]
	v_dual_mov_b32 v3, v1 :: v_dual_mov_b32 v2, v0
	s_or_b32 s7, vcc_lo, s7
	s_delay_alu instid0(SALU_CYCLE_1)
	s_and_not1_b32 exec_lo, exec_lo, s7
	s_cbranch_execnz .LBB6_378
.LBB6_379:
	s_or_b32 exec_lo, exec_lo, s6
	v_mov_b32_e32 v3, 0
	s_mov_b32 s7, exec_lo
	s_mov_b32 s6, exec_lo
	v_mbcnt_lo_u32_b32 v2, s7, 0
	global_load_b64 v[0:1], v3, s[2:3] offset:16
	v_cmpx_eq_u32_e32 0, v2
	s_cbranch_execz .LBB6_381
; %bb.380:
	s_bcnt1_i32_b32 s7, s7
	s_delay_alu instid0(SALU_CYCLE_1)
	v_mov_b32_e32 v2, s7
	s_waitcnt vmcnt(0)
	global_atomic_add_u64 v[0:1], v[2:3], off offset:8
.LBB6_381:
	s_or_b32 exec_lo, exec_lo, s6
	s_waitcnt vmcnt(0)
	global_load_b64 v[2:3], v[0:1], off offset:16
	s_waitcnt vmcnt(0)
	v_cmp_eq_u64_e32 vcc_lo, 0, v[2:3]
	s_cbranch_vccnz .LBB6_383
; %bb.382:
	global_load_b32 v0, v[0:1], off offset:24
	s_waitcnt vmcnt(0)
	v_dual_mov_b32 v1, 0 :: v_dual_and_b32 v4, 0xffffff, v0
	s_waitcnt_vscnt null, 0x0
	global_store_b64 v[2:3], v[0:1], off
	v_readfirstlane_b32 m0, v4
	s_sendmsg sendmsg(MSG_INTERRUPT)
.LBB6_383:
	s_or_b32 exec_lo, exec_lo, s1
	s_branch .LBB6_385
.LBB6_384:
	s_branch .LBB6_389
.LBB6_385:                              ; =>This Inner Loop Header: Depth=1
	v_mov_b32_e32 v0, 1
	s_and_saveexec_b32 s1, s0
	s_cbranch_execz .LBB6_387
; %bb.386:                              ;   in Loop: Header=BB6_385 Depth=1
	global_load_b32 v0, v[8:9], off offset:20 glc
	s_waitcnt vmcnt(0)
	buffer_gl1_inv
	buffer_gl0_inv
	v_and_b32_e32 v0, 1, v0
.LBB6_387:                              ;   in Loop: Header=BB6_385 Depth=1
	s_or_b32 exec_lo, exec_lo, s1
	s_delay_alu instid0(VALU_DEP_1) | instskip(NEXT) | instid1(VALU_DEP_1)
	v_readfirstlane_b32 s1, v0
	s_cmp_eq_u32 s1, 0
	s_cbranch_scc1 .LBB6_384
; %bb.388:                              ;   in Loop: Header=BB6_385 Depth=1
	s_sleep 1
	s_cbranch_execnz .LBB6_385
.LBB6_389:
	s_and_saveexec_b32 s1, s0
	s_cbranch_execz .LBB6_393
; %bb.390:
	v_mov_b32_e32 v6, 0
	s_clause 0x2
	global_load_b64 v[2:3], v6, s[2:3] offset:40
	global_load_b64 v[7:8], v6, s[2:3] offset:24 glc
	global_load_b64 v[4:5], v6, s[2:3]
	s_waitcnt vmcnt(2)
	v_add_co_u32 v9, vcc_lo, v2, 1
	v_add_co_ci_u32_e32 v10, vcc_lo, 0, v3, vcc_lo
	s_delay_alu instid0(VALU_DEP_2) | instskip(NEXT) | instid1(VALU_DEP_2)
	v_add_co_u32 v0, vcc_lo, v9, s4
	v_add_co_ci_u32_e32 v1, vcc_lo, s5, v10, vcc_lo
	s_delay_alu instid0(VALU_DEP_1) | instskip(SKIP_1) | instid1(VALU_DEP_1)
	v_cmp_eq_u64_e32 vcc_lo, 0, v[0:1]
	v_dual_cndmask_b32 v1, v1, v10 :: v_dual_cndmask_b32 v0, v0, v9
	v_and_b32_e32 v3, v1, v3
	s_delay_alu instid0(VALU_DEP_2) | instskip(NEXT) | instid1(VALU_DEP_2)
	v_and_b32_e32 v2, v0, v2
	v_mul_lo_u32 v3, v3, 24
	s_delay_alu instid0(VALU_DEP_2) | instskip(SKIP_1) | instid1(VALU_DEP_2)
	v_mul_hi_u32 v9, v2, 24
	v_mul_lo_u32 v2, v2, 24
	v_add_nc_u32_e32 v3, v9, v3
	s_waitcnt vmcnt(0)
	s_delay_alu instid0(VALU_DEP_2) | instskip(SKIP_1) | instid1(VALU_DEP_3)
	v_add_co_u32 v4, vcc_lo, v4, v2
	v_mov_b32_e32 v2, v7
	v_add_co_ci_u32_e32 v5, vcc_lo, v5, v3, vcc_lo
	v_mov_b32_e32 v3, v8
	global_store_b64 v[4:5], v[7:8], off
	s_waitcnt_vscnt null, 0x0
	global_atomic_cmpswap_b64 v[2:3], v6, v[0:3], s[2:3] offset:24 glc
	s_waitcnt vmcnt(0)
	v_cmp_ne_u64_e32 vcc_lo, v[2:3], v[7:8]
	s_and_b32 exec_lo, exec_lo, vcc_lo
	s_cbranch_execz .LBB6_393
; %bb.391:
	s_mov_b32 s0, 0
.LBB6_392:                              ; =>This Inner Loop Header: Depth=1
	s_sleep 1
	global_store_b64 v[4:5], v[2:3], off
	s_waitcnt_vscnt null, 0x0
	global_atomic_cmpswap_b64 v[7:8], v6, v[0:3], s[2:3] offset:24 glc
	s_waitcnt vmcnt(0)
	v_cmp_eq_u64_e32 vcc_lo, v[7:8], v[2:3]
	v_dual_mov_b32 v2, v7 :: v_dual_mov_b32 v3, v8
	s_or_b32 s0, vcc_lo, s0
	s_delay_alu instid0(SALU_CYCLE_1)
	s_and_not1_b32 exec_lo, exec_lo, s0
	s_cbranch_execnz .LBB6_392
.LBB6_393:
	s_or_b32 exec_lo, exec_lo, s1
.LBB6_394:
	s_getpc_b64 s[0:1]
	s_add_u32 s0, s0, .str.29@rel32@lo+4
	s_addc_u32 s1, s1, .str.29@rel32@hi+12
	s_getpc_b64 s[2:3]
	s_add_u32 s2, s2, .str.19@rel32@lo+4
	s_addc_u32 s3, s3, .str.19@rel32@hi+12
	s_getpc_b64 s[4:5]
	s_add_u32 s4, s4, __PRETTY_FUNCTION__._ZN7VecsMemIjLi8192EE5fetchEi@rel32@lo+4
	s_addc_u32 s5, s5, __PRETTY_FUNCTION__._ZN7VecsMemIjLi8192EE5fetchEi@rel32@hi+12
	s_waitcnt vmcnt(0)
	v_dual_mov_b32 v0, s0 :: v_dual_mov_b32 v1, s1
	v_dual_mov_b32 v2, s2 :: v_dual_mov_b32 v3, s3
	;; [unrolled: 1-line block ×3, first 2 shown]
	v_mov_b32_e32 v6, s5
	s_mov_b64 s[8:9], s[44:45]
	s_getpc_b64 s[6:7]
	s_add_u32 s6, s6, __assert_fail@rel32@lo+4
	s_addc_u32 s7, s7, __assert_fail@rel32@hi+12
	s_delay_alu instid0(SALU_CYCLE_1)
	s_swappc_b64 s[30:31], s[6:7]
	s_or_b32 s0, s19, exec_lo
.LBB6_395:
	s_or_b32 exec_lo, exec_lo, s29
	s_delay_alu instid0(SALU_CYCLE_1) | instskip(SKIP_1) | instid1(SALU_CYCLE_1)
	s_and_not1_b32 s1, s19, exec_lo
	s_and_b32 s0, s0, exec_lo
	s_or_b32 s29, s1, s0
	s_or_not1_b32 s1, s28, exec_lo
.LBB6_396:
	s_or_b32 exec_lo, exec_lo, s27
	s_mov_b32 s0, 0
	s_and_saveexec_b32 s27, s1
	s_cbranch_execz .LBB6_408
; %bb.397:
	v_mov_b32_e32 v0, 0
	s_mov_b32 s2, 0
	s_mov_b32 s1, exec_lo
	scratch_store_b64 off, v[66:67], s33 offset:168
	v_cmpx_lt_i32_e32 0, v46
	s_cbranch_execz .LBB6_405
; %bb.398:
	v_mov_b32_e32 v2, v62
	v_dual_mov_b32 v0, 0 :: v_dual_mov_b32 v3, v63
	s_mov_b32 s3, 0
	s_set_inst_prefetch_distance 0x1
	s_branch .LBB6_400
.LBB6_399:                              ;   in Loop: Header=BB6_400 Depth=1
	s_or_b32 exec_lo, exec_lo, s0
	flat_load_b32 v46, v[60:61] offset:4
	s_add_i32 s3, s3, 1
	v_add_co_u32 v2, s0, v2, 4
	s_delay_alu instid0(VALU_DEP_1) | instskip(SKIP_3) | instid1(SALU_CYCLE_1)
	v_add_co_ci_u32_e64 v3, s0, 0, v3, s0
	s_waitcnt vmcnt(0) lgkmcnt(0)
	v_cmp_ge_i32_e32 vcc_lo, s3, v46
	s_or_b32 s2, vcc_lo, s2
	s_and_not1_b32 exec_lo, exec_lo, s2
	s_cbranch_execz .LBB6_404
.LBB6_400:                              ; =>This Inner Loop Header: Depth=1
	flat_load_b32 v4, v[2:3]
	s_mov_b32 s0, exec_lo
	s_waitcnt vmcnt(0) lgkmcnt(0)
	v_cmpx_gt_i32_e32 0, v4
	s_xor_b32 s0, exec_lo, s0
	s_cbranch_execz .LBB6_402
; %bb.401:                              ;   in Loop: Header=BB6_400 Depth=1
	v_and_b32_e32 v1, 0x7fffffff, v4
                                        ; implicit-def: $vgpr4
	flat_store_b32 v[2:3], v1
.LBB6_402:                              ;   in Loop: Header=BB6_400 Depth=1
	s_and_not1_saveexec_b32 s0, s0
	s_cbranch_execz .LBB6_399
; %bb.403:                              ;   in Loop: Header=BB6_400 Depth=1
	v_ashrrev_i32_e32 v1, 31, v0
	s_delay_alu instid0(VALU_DEP_1) | instskip(SKIP_1) | instid1(VALU_DEP_2)
	v_lshlrev_b64 v[5:6], 2, v[0:1]
	v_add_nc_u32_e32 v0, 1, v0
	v_add_co_u32 v5, vcc_lo, v66, v5
	s_delay_alu instid0(VALU_DEP_3)
	v_add_co_ci_u32_e32 v6, vcc_lo, v67, v6, vcc_lo
	flat_store_b32 v[5:6], v4
	s_branch .LBB6_399
.LBB6_404:
	s_set_inst_prefetch_distance 0x2
	s_or_b32 exec_lo, exec_lo, s2
	scratch_store_b32 off, v0, s33 offset:164
.LBB6_405:
	s_or_b32 exec_lo, exec_lo, s1
	s_mov_b32 s0, -1
	s_mov_b32 s1, s29
	s_mov_b32 s2, exec_lo
	v_cmpx_ne_u32_e64 v65, v0
	s_xor_b32 s28, exec_lo, s2
	s_cbranch_execz .LBB6_407
; %bb.406:
	s_getpc_b64 s[0:1]
	s_add_u32 s0, s0, .str.40@rel32@lo+4
	s_addc_u32 s1, s1, .str.40@rel32@hi+12
	s_getpc_b64 s[2:3]
	s_add_u32 s2, s2, .str.31@rel32@lo+4
	s_addc_u32 s3, s3, .str.31@rel32@hi+12
	s_getpc_b64 s[4:5]
	s_add_u32 s4, s4, __PRETTY_FUNCTION__._ZN3sop17sopDivideInternalEPNS_3SopES1_S1_S1_P7VecsMemIjLi8192EE@rel32@lo+4
	s_addc_u32 s5, s5, __PRETTY_FUNCTION__._ZN3sop17sopDivideInternalEPNS_3SopES1_S1_S1_P7VecsMemIjLi8192EE@rel32@hi+12
	v_dual_mov_b32 v0, s0 :: v_dual_mov_b32 v1, s1
	v_dual_mov_b32 v2, s2 :: v_dual_mov_b32 v3, s3
	;; [unrolled: 1-line block ×3, first 2 shown]
	v_mov_b32_e32 v6, s5
	s_mov_b64 s[8:9], s[44:45]
	s_getpc_b64 s[6:7]
	s_add_u32 s6, s6, __assert_fail@rel32@lo+4
	s_addc_u32 s7, s7, __assert_fail@rel32@hi+12
	s_delay_alu instid0(SALU_CYCLE_1)
	s_swappc_b64 s[30:31], s[6:7]
	s_or_b32 s1, s29, exec_lo
	s_xor_b32 s0, exec_lo, -1
                                        ; implicit-def: $vgpr64
                                        ; implicit-def: $vgpr53_vgpr54
                                        ; implicit-def: $vgpr46
.LBB6_407:
	s_or_b32 exec_lo, exec_lo, s28
	s_delay_alu instid0(SALU_CYCLE_1)
	s_and_not1_b32 s2, s29, exec_lo
	s_and_b32 s1, s1, exec_lo
	s_and_b32 s0, s0, exec_lo
	s_or_b32 s29, s2, s1
.LBB6_408:
	s_or_b32 exec_lo, exec_lo, s27
	s_delay_alu instid0(SALU_CYCLE_1)
	s_and_not1_b32 s1, s19, exec_lo
	s_and_b32 s2, s29, exec_lo
	s_and_b32 s27, s0, exec_lo
	s_or_b32 s28, s1, s2
.LBB6_409:
	s_and_not1_saveexec_b32 s26, s26
	s_cbranch_execz .LBB6_411
; %bb.410:
	s_getpc_b64 s[0:1]
	s_add_u32 s0, s0, .str.39@rel32@lo+4
	s_addc_u32 s1, s1, .str.39@rel32@hi+12
	s_getpc_b64 s[2:3]
	s_add_u32 s2, s2, .str.31@rel32@lo+4
	s_addc_u32 s3, s3, .str.31@rel32@hi+12
	s_getpc_b64 s[4:5]
	s_add_u32 s4, s4, __PRETTY_FUNCTION__._ZN3sop17sopDivideInternalEPNS_3SopES1_S1_S1_P7VecsMemIjLi8192EE@rel32@lo+4
	s_addc_u32 s5, s5, __PRETTY_FUNCTION__._ZN3sop17sopDivideInternalEPNS_3SopES1_S1_S1_P7VecsMemIjLi8192EE@rel32@hi+12
	v_dual_mov_b32 v0, s0 :: v_dual_mov_b32 v1, s1
	v_dual_mov_b32 v2, s2 :: v_dual_mov_b32 v3, s3
	;; [unrolled: 1-line block ×3, first 2 shown]
	v_mov_b32_e32 v6, s5
	s_mov_b64 s[8:9], s[44:45]
	s_getpc_b64 s[6:7]
	s_add_u32 s6, s6, __assert_fail@rel32@lo+4
	s_addc_u32 s7, s7, __assert_fail@rel32@hi+12
	s_delay_alu instid0(SALU_CYCLE_1)
	s_swappc_b64 s[30:31], s[6:7]
	s_or_b32 s28, s28, exec_lo
                                        ; implicit-def: $vgpr64
                                        ; implicit-def: $vgpr53_vgpr54
                                        ; implicit-def: $vgpr46
.LBB6_411:
	s_or_b32 exec_lo, exec_lo, s26
	s_delay_alu instid0(SALU_CYCLE_1) | instskip(SKIP_1) | instid1(SALU_CYCLE_1)
	s_and_not1_b32 s0, s19, exec_lo
	s_and_b32 s1, s28, exec_lo
	s_or_b32 s19, s0, s1
	s_and_b32 s0, s27, exec_lo
.LBB6_412:
	s_or_b32 exec_lo, exec_lo, s20
	s_delay_alu instid0(SALU_CYCLE_1) | instskip(SKIP_1) | instid1(SALU_CYCLE_1)
	s_and_not1_b32 s1, s18, exec_lo
	s_and_b32 s2, s19, exec_lo
                                        ; implicit-def: $vgpr66_vgpr67
	s_or_b32 s19, s1, s2
	s_and_b32 s1, s0, exec_lo
	s_or_saveexec_b32 s2, s17
	s_mov_b32 s28, 0
	s_xor_b32 exec_lo, exec_lo, s2
	s_cbranch_execnz .LBB6_163
.LBB6_413:
	s_or_b32 exec_lo, exec_lo, s2
                                        ; implicit-def: $vgpr40
	s_and_saveexec_b32 s29, s1
	s_cbranch_execz .LBB6_1593
.LBB6_414:
	s_mov_b32 s20, s19
	s_mov_b32 s0, exec_lo
	s_waitcnt vmcnt(0)
	v_cmpx_gt_i32_e32 1, v64
	s_xor_b32 s17, exec_lo, s0
	s_cbranch_execz .LBB6_416
; %bb.415:
	s_getpc_b64 s[0:1]
	s_add_u32 s0, s0, .str.34@rel32@lo+4
	s_addc_u32 s1, s1, .str.34@rel32@hi+12
	s_getpc_b64 s[2:3]
	s_add_u32 s2, s2, .str.31@rel32@lo+4
	s_addc_u32 s3, s3, .str.31@rel32@hi+12
	s_getpc_b64 s[4:5]
	s_add_u32 s4, s4, __PRETTY_FUNCTION__._ZN3sop12sopFactorRecEPNS_3SopEiP7VecsMemIjLi8192EEPN8subgUtil4SubgILi256EEE@rel32@lo+4
	s_addc_u32 s5, s5, __PRETTY_FUNCTION__._ZN3sop12sopFactorRecEPNS_3SopEiP7VecsMemIjLi8192EEPN8subgUtil4SubgILi256EEE@rel32@hi+12
	v_dual_mov_b32 v0, s0 :: v_dual_mov_b32 v1, s1
	v_dual_mov_b32 v2, s2 :: v_dual_mov_b32 v3, s3
	s_waitcnt lgkmcnt(1)
	v_dual_mov_b32 v4, 0x1b7 :: v_dual_mov_b32 v5, s4
	v_mov_b32_e32 v6, s5
	s_mov_b64 s[8:9], s[44:45]
	s_getpc_b64 s[6:7]
	s_add_u32 s6, s6, __assert_fail@rel32@lo+4
	s_addc_u32 s7, s7, __assert_fail@rel32@hi+12
	s_delay_alu instid0(SALU_CYCLE_1)
	s_swappc_b64 s[30:31], s[6:7]
	s_or_b32 s20, s19, exec_lo
                                        ; implicit-def: $vgpr64
                                        ; implicit-def: $vgpr53_vgpr54
                                        ; implicit-def: $vgpr46
                                        ; implicit-def: $vgpr62_vgpr63
                                        ; implicit-def: $vgpr58_vgpr59
                                        ; implicit-def: $vgpr44_vgpr45
                                        ; implicit-def: $vgpr41
                                        ; implicit-def: $vgpr60_vgpr61
.LBB6_416:
	s_or_saveexec_b32 s34, s17
                                        ; implicit-def: $vgpr40
	s_delay_alu instid0(SALU_CYCLE_1)
	s_xor_b32 exec_lo, exec_lo, s34
	s_cbranch_execz .LBB6_1592
; %bb.417:
	v_add_co_u32 v55, vcc_lo, v58, 4
	v_add_co_ci_u32_e32 v67, vcc_lo, 0, v59, vcc_lo
	s_mov_b32 s35, 0
	s_mov_b32 s41, 0
	;; [unrolled: 1-line block ×3, first 2 shown]
                                        ; implicit-def: $vgpr40
	s_mov_b32 s0, exec_lo
	v_cmpx_ne_u32_e32 1, v64
	s_xor_b32 s49, exec_lo, s0
                                        ; implicit-def: $vgpr56 : SGPR spill to VGPR lane
	s_cbranch_execz .LBB6_748
; %bb.418:
	v_dual_mov_b32 v0, v53 :: v_dual_mov_b32 v3, v64
	v_dual_mov_b32 v2, -1 :: v_dual_mov_b32 v1, v54
	s_mov_b32 s1, 0
.LBB6_419:                              ; =>This Inner Loop Header: Depth=1
	s_waitcnt lgkmcnt(1)
	flat_load_b32 v4, v[0:1]
	v_add_nc_u32_e32 v3, -1, v3
	v_add_co_u32 v0, vcc_lo, v0, 4
	v_add_co_ci_u32_e32 v1, vcc_lo, 0, v1, vcc_lo
	s_delay_alu instid0(VALU_DEP_3) | instskip(NEXT) | instid1(VALU_DEP_1)
	v_cmp_eq_u32_e64 s0, 0, v3
	s_or_b32 s1, s0, s1
	s_waitcnt vmcnt(0) lgkmcnt(0)
	v_and_b32_e32 v2, v4, v2
	s_and_not1_b32 exec_lo, exec_lo, s1
	s_cbranch_execnz .LBB6_419
; %bb.420:
	s_or_b32 exec_lo, exec_lo, s1
	s_mov_b32 s2, 0
	s_mov_b32 s1, exec_lo
	v_cmpx_ne_u32_e32 0, v2
	s_cbranch_execz .LBB6_424
; %bb.421:
	v_not_b32_e32 v0, v2
	v_max_i32_e32 v1, 1, v64
.LBB6_422:                              ; =>This Inner Loop Header: Depth=1
	flat_load_b32 v2, v[53:54]
	v_add_nc_u32_e32 v1, -1, v1
	s_delay_alu instid0(VALU_DEP_1)
	v_cmp_eq_u32_e32 vcc_lo, 0, v1
	s_or_b32 s2, vcc_lo, s2
	s_waitcnt vmcnt(0) lgkmcnt(0)
	v_and_b32_e32 v2, v2, v0
	flat_store_b32 v[53:54], v2
	v_add_co_u32 v53, s0, v53, 4
	s_delay_alu instid0(VALU_DEP_1)
	v_add_co_ci_u32_e64 v54, s0, 0, v54, s0
	s_and_not1_b32 exec_lo, exec_lo, s2
	s_cbranch_execnz .LBB6_422
; %bb.423:
	s_or_b32 exec_lo, exec_lo, s2
	flat_load_b32 v46, v[60:61] offset:4
.LBB6_424:
	s_or_b32 exec_lo, exec_lo, s1
	s_mov_b32 s17, 0
	s_mov_b32 s26, s20
                                        ; implicit-def: $vgpr40
	s_mov_b32 s0, exec_lo
	s_waitcnt vmcnt(0) lgkmcnt(0)
	v_cmpx_ge_i32_e64 v46, v64
	s_xor_b32 s37, exec_lo, s0
	s_cbranch_execz .LBB6_745
; %bb.425:
	scratch_load_b32 v64, off, s33 offset:148
	v_sub_nc_u32_e32 v3, 0, v46
	v_mov_b32_e32 v53, 0
	s_mov_b32 s0, -1
	s_mov_b32 s17, s20
	s_mov_b32 s26, exec_lo
	v_max_i32_e32 v3, v46, v3
	v_mov_b32_e32 v54, 0
	s_waitcnt vmcnt(0)
	v_sub_nc_u32_e32 v0, 0, v64
	s_delay_alu instid0(VALU_DEP_1) | instskip(NEXT) | instid1(VALU_DEP_1)
	v_max_i32_e32 v0, v64, v0
	v_cvt_f32_u32_e32 v1, v0
	v_sub_nc_u32_e32 v2, 0, v0
	s_delay_alu instid0(VALU_DEP_2) | instskip(SKIP_2) | instid1(VALU_DEP_1)
	v_rcp_iflag_f32_e32 v1, v1
	s_waitcnt_depctr 0xfff
	v_mul_f32_e32 v1, 0x4f7ffffe, v1
	v_cvt_u32_f32_e32 v1, v1
	s_delay_alu instid0(VALU_DEP_1) | instskip(NEXT) | instid1(VALU_DEP_1)
	v_mul_lo_u32 v2, v2, v1
	v_mul_hi_u32 v2, v1, v2
	s_delay_alu instid0(VALU_DEP_1) | instskip(NEXT) | instid1(VALU_DEP_1)
	v_add_nc_u32_e32 v1, v1, v2
	v_mul_hi_u32 v1, v3, v1
	s_delay_alu instid0(VALU_DEP_1) | instskip(NEXT) | instid1(VALU_DEP_1)
	v_mul_lo_u32 v2, v1, v0
	v_sub_nc_u32_e32 v2, v3, v2
	v_add_nc_u32_e32 v3, 1, v1
	s_delay_alu instid0(VALU_DEP_2) | instskip(SKIP_1) | instid1(VALU_DEP_2)
	v_sub_nc_u32_e32 v4, v2, v0
	v_cmp_ge_u32_e32 vcc_lo, v2, v0
	v_dual_cndmask_b32 v1, v1, v3 :: v_dual_cndmask_b32 v2, v2, v4
	v_xor_b32_e32 v3, v46, v64
	s_delay_alu instid0(VALU_DEP_2) | instskip(NEXT) | instid1(VALU_DEP_3)
	v_add_nc_u32_e32 v4, 1, v1
	v_cmp_ge_u32_e32 vcc_lo, v2, v0
	s_delay_alu instid0(VALU_DEP_3) | instskip(NEXT) | instid1(VALU_DEP_3)
	v_ashrrev_i32_e32 v3, 31, v3
	v_dual_cndmask_b32 v0, v1, v4 :: v_dual_mov_b32 v1, 0
	s_delay_alu instid0(VALU_DEP_1) | instskip(SKIP_2) | instid1(VALU_DEP_1)
	v_xor_b32_e32 v0, v0, v3
	scratch_store_b32 off, v1, s33 offset:132
	v_sub_nc_u32_e32 v0, v0, v3
	v_cmpx_lt_i32_e32 0, v0
	s_cbranch_execz .LBB6_571
; %bb.426:
	flat_load_b32 v1, v[58:59]
	s_mov_b32 s27, 0
	s_mov_b32 s0, exec_lo
	v_mov_b32_e32 v53, 0
	v_mov_b32_e32 v54, 0
	s_waitcnt vmcnt(0) lgkmcnt(0)
	v_add_nc_u32_e32 v2, v1, v0
	s_delay_alu instid0(VALU_DEP_1)
	v_cmpx_gt_i32_e32 0x2001, v2
	s_xor_b32 s0, exec_lo, s0
	s_cbranch_execz .LBB6_428
; %bb.427:
	v_ashrrev_i32_e32 v3, 31, v2
	v_mov_b32_e32 v1, 0
	s_mov_b32 s27, exec_lo
	flat_store_b32 v[58:59], v2
	v_lshlrev_b64 v[3:4], 2, v[2:3]
	v_lshlrev_b64 v[0:1], 2, v[0:1]
	s_delay_alu instid0(VALU_DEP_2) | instskip(NEXT) | instid1(VALU_DEP_3)
	v_add_co_u32 v3, vcc_lo, v58, v3
	v_add_co_ci_u32_e32 v4, vcc_lo, v59, v4, vcc_lo
	s_delay_alu instid0(VALU_DEP_2) | instskip(NEXT) | instid1(VALU_DEP_2)
	v_sub_co_u32 v0, vcc_lo, v3, v0
	v_sub_co_ci_u32_e32 v1, vcc_lo, v4, v1, vcc_lo
	s_delay_alu instid0(VALU_DEP_2) | instskip(NEXT) | instid1(VALU_DEP_2)
	v_add_co_u32 v53, vcc_lo, v0, 4
	v_add_co_ci_u32_e32 v54, vcc_lo, 0, v1, vcc_lo
.LBB6_428:
	s_or_saveexec_b32 s17, s0
	s_mov_b32 s0, s20
	s_xor_b32 exec_lo, exec_lo, s17
	s_cbranch_execz .LBB6_570
; %bb.429:
	s_load_b64 s[2:3], s[44:45], 0x50
	v_mbcnt_lo_u32_b32 v29, -1, 0
	v_mov_b32_e32 v6, 0
	v_mov_b32_e32 v7, 0
	s_delay_alu instid0(VALU_DEP_3) | instskip(NEXT) | instid1(VALU_DEP_1)
	v_readfirstlane_b32 s0, v29
	v_cmp_eq_u32_e64 s0, s0, v29
	s_delay_alu instid0(VALU_DEP_1)
	s_and_saveexec_b32 s1, s0
	s_cbranch_execz .LBB6_435
; %bb.430:
	v_mov_b32_e32 v0, 0
	s_mov_b32 s4, exec_lo
	s_waitcnt lgkmcnt(0)
	global_load_b64 v[3:4], v0, s[2:3] offset:24 glc
	s_waitcnt vmcnt(0)
	buffer_gl1_inv
	buffer_gl0_inv
	s_clause 0x1
	global_load_b64 v[1:2], v0, s[2:3] offset:40
	global_load_b64 v[5:6], v0, s[2:3]
	s_waitcnt vmcnt(1)
	v_and_b32_e32 v1, v1, v3
	v_and_b32_e32 v2, v2, v4
	s_delay_alu instid0(VALU_DEP_2) | instskip(NEXT) | instid1(VALU_DEP_2)
	v_mul_hi_u32 v7, v1, 24
	v_mul_lo_u32 v2, v2, 24
	v_mul_lo_u32 v1, v1, 24
	s_delay_alu instid0(VALU_DEP_2) | instskip(SKIP_1) | instid1(VALU_DEP_2)
	v_add_nc_u32_e32 v2, v7, v2
	s_waitcnt vmcnt(0)
	v_add_co_u32 v1, vcc_lo, v5, v1
	s_delay_alu instid0(VALU_DEP_2)
	v_add_co_ci_u32_e32 v2, vcc_lo, v6, v2, vcc_lo
	global_load_b64 v[1:2], v[1:2], off glc
	s_waitcnt vmcnt(0)
	global_atomic_cmpswap_b64 v[6:7], v0, v[1:4], s[2:3] offset:24 glc
	s_waitcnt vmcnt(0)
	buffer_gl1_inv
	buffer_gl0_inv
	v_cmpx_ne_u64_e64 v[6:7], v[3:4]
	s_cbranch_execz .LBB6_434
; %bb.431:
	s_mov_b32 s5, 0
.LBB6_432:                              ; =>This Inner Loop Header: Depth=1
	s_sleep 1
	s_clause 0x1
	global_load_b64 v[1:2], v0, s[2:3] offset:40
	global_load_b64 v[8:9], v0, s[2:3]
	v_dual_mov_b32 v3, v6 :: v_dual_mov_b32 v4, v7
	s_waitcnt vmcnt(1)
	s_delay_alu instid0(VALU_DEP_1) | instskip(NEXT) | instid1(VALU_DEP_2)
	v_and_b32_e32 v1, v1, v3
	v_and_b32_e32 v2, v2, v4
	s_waitcnt vmcnt(0)
	s_delay_alu instid0(VALU_DEP_2) | instskip(NEXT) | instid1(VALU_DEP_1)
	v_mad_u64_u32 v[5:6], null, v1, 24, v[8:9]
	v_mov_b32_e32 v1, v6
	s_delay_alu instid0(VALU_DEP_1)
	v_mad_u64_u32 v[6:7], null, v2, 24, v[1:2]
	global_load_b64 v[1:2], v[5:6], off glc
	s_waitcnt vmcnt(0)
	global_atomic_cmpswap_b64 v[6:7], v0, v[1:4], s[2:3] offset:24 glc
	s_waitcnt vmcnt(0)
	buffer_gl1_inv
	buffer_gl0_inv
	v_cmp_eq_u64_e32 vcc_lo, v[6:7], v[3:4]
	s_or_b32 s5, vcc_lo, s5
	s_delay_alu instid0(SALU_CYCLE_1)
	s_and_not1_b32 exec_lo, exec_lo, s5
	s_cbranch_execnz .LBB6_432
; %bb.433:
	s_or_b32 exec_lo, exec_lo, s5
.LBB6_434:
	s_delay_alu instid0(SALU_CYCLE_1)
	s_or_b32 exec_lo, exec_lo, s4
.LBB6_435:
	s_delay_alu instid0(SALU_CYCLE_1)
	s_or_b32 exec_lo, exec_lo, s1
	v_mov_b32_e32 v5, 0
	v_readfirstlane_b32 s4, v6
	v_readfirstlane_b32 s5, v7
	s_mov_b32 s1, exec_lo
	s_waitcnt lgkmcnt(0)
	s_clause 0x1
	global_load_b64 v[8:9], v5, s[2:3] offset:40
	global_load_b128 v[0:3], v5, s[2:3]
	s_waitcnt vmcnt(1)
	v_readfirstlane_b32 s6, v8
	v_readfirstlane_b32 s7, v9
	s_delay_alu instid0(VALU_DEP_1) | instskip(NEXT) | instid1(SALU_CYCLE_1)
	s_and_b64 s[6:7], s[4:5], s[6:7]
	s_mul_i32 s8, s7, 24
	s_mul_hi_u32 s9, s6, 24
	s_mul_i32 s10, s6, 24
	s_add_i32 s9, s9, s8
	s_waitcnt vmcnt(0)
	v_add_co_u32 v8, vcc_lo, v0, s10
	v_add_co_ci_u32_e32 v9, vcc_lo, s9, v1, vcc_lo
	s_and_saveexec_b32 s8, s0
	s_cbranch_execz .LBB6_437
; %bb.436:
	v_dual_mov_b32 v4, s1 :: v_dual_mov_b32 v7, 1
	v_mov_b32_e32 v6, 2
	global_store_b128 v[8:9], v[4:7], off offset:8
.LBB6_437:
	s_or_b32 exec_lo, exec_lo, s8
	s_lshl_b64 s[6:7], s[6:7], 12
	v_dual_mov_b32 v7, v5 :: v_dual_lshlrev_b32 v28, 6, v29
	v_add_co_u32 v2, vcc_lo, v2, s6
	v_add_co_ci_u32_e32 v3, vcc_lo, s7, v3, vcc_lo
	s_mov_b32 s8, 0
	s_delay_alu instid0(VALU_DEP_2)
	v_add_co_u32 v10, vcc_lo, v2, v28
	s_mov_b32 s11, s8
	s_mov_b32 s9, s8
	;; [unrolled: 1-line block ×3, first 2 shown]
	v_dual_mov_b32 v4, 33 :: v_dual_mov_b32 v15, s11
	v_dual_mov_b32 v6, v5 :: v_dual_mov_b32 v13, s9
	v_readfirstlane_b32 s6, v2
	v_readfirstlane_b32 s7, v3
	v_add_co_ci_u32_e32 v11, vcc_lo, 0, v3, vcc_lo
	v_mov_b32_e32 v14, s10
	v_mov_b32_e32 v12, s8
	s_clause 0x3
	global_store_b128 v28, v[4:7], s[6:7]
	global_store_b128 v28, v[12:15], s[6:7] offset:16
	global_store_b128 v28, v[12:15], s[6:7] offset:32
	;; [unrolled: 1-line block ×3, first 2 shown]
	s_and_saveexec_b32 s1, s0
	s_cbranch_execz .LBB6_445
; %bb.438:
	v_mov_b32_e32 v6, 0
	s_mov_b32 s6, exec_lo
	s_clause 0x1
	global_load_b64 v[14:15], v6, s[2:3] offset:32 glc
	global_load_b64 v[2:3], v6, s[2:3] offset:40
	v_dual_mov_b32 v13, s5 :: v_dual_mov_b32 v12, s4
	s_waitcnt vmcnt(0)
	v_and_b32_e32 v3, s5, v3
	v_and_b32_e32 v2, s4, v2
	s_delay_alu instid0(VALU_DEP_2) | instskip(NEXT) | instid1(VALU_DEP_2)
	v_mul_lo_u32 v3, v3, 24
	v_mul_hi_u32 v4, v2, 24
	v_mul_lo_u32 v2, v2, 24
	s_delay_alu instid0(VALU_DEP_2) | instskip(NEXT) | instid1(VALU_DEP_2)
	v_add_nc_u32_e32 v3, v4, v3
	v_add_co_u32 v4, vcc_lo, v0, v2
	s_delay_alu instid0(VALU_DEP_2)
	v_add_co_ci_u32_e32 v5, vcc_lo, v1, v3, vcc_lo
	global_store_b64 v[4:5], v[14:15], off
	s_waitcnt_vscnt null, 0x0
	global_atomic_cmpswap_b64 v[2:3], v6, v[12:15], s[2:3] offset:32 glc
	s_waitcnt vmcnt(0)
	v_cmpx_ne_u64_e64 v[2:3], v[14:15]
	s_cbranch_execz .LBB6_441
; %bb.439:
	s_mov_b32 s7, 0
.LBB6_440:                              ; =>This Inner Loop Header: Depth=1
	v_dual_mov_b32 v0, s4 :: v_dual_mov_b32 v1, s5
	s_sleep 1
	global_store_b64 v[4:5], v[2:3], off
	s_waitcnt_vscnt null, 0x0
	global_atomic_cmpswap_b64 v[0:1], v6, v[0:3], s[2:3] offset:32 glc
	s_waitcnt vmcnt(0)
	v_cmp_eq_u64_e32 vcc_lo, v[0:1], v[2:3]
	v_dual_mov_b32 v3, v1 :: v_dual_mov_b32 v2, v0
	s_or_b32 s7, vcc_lo, s7
	s_delay_alu instid0(SALU_CYCLE_1)
	s_and_not1_b32 exec_lo, exec_lo, s7
	s_cbranch_execnz .LBB6_440
.LBB6_441:
	s_or_b32 exec_lo, exec_lo, s6
	v_mov_b32_e32 v3, 0
	s_mov_b32 s7, exec_lo
	s_mov_b32 s6, exec_lo
	v_mbcnt_lo_u32_b32 v2, s7, 0
	global_load_b64 v[0:1], v3, s[2:3] offset:16
	v_cmpx_eq_u32_e32 0, v2
	s_cbranch_execz .LBB6_443
; %bb.442:
	s_bcnt1_i32_b32 s7, s7
	s_delay_alu instid0(SALU_CYCLE_1)
	v_mov_b32_e32 v2, s7
	s_waitcnt vmcnt(0)
	global_atomic_add_u64 v[0:1], v[2:3], off offset:8
.LBB6_443:
	s_or_b32 exec_lo, exec_lo, s6
	s_waitcnt vmcnt(0)
	global_load_b64 v[2:3], v[0:1], off offset:16
	s_waitcnt vmcnt(0)
	v_cmp_eq_u64_e32 vcc_lo, 0, v[2:3]
	s_cbranch_vccnz .LBB6_445
; %bb.444:
	global_load_b32 v0, v[0:1], off offset:24
	s_waitcnt vmcnt(0)
	v_dual_mov_b32 v1, 0 :: v_dual_and_b32 v4, 0xffffff, v0
	s_waitcnt_vscnt null, 0x0
	global_store_b64 v[2:3], v[0:1], off
	v_readfirstlane_b32 m0, v4
	s_sendmsg sendmsg(MSG_INTERRUPT)
.LBB6_445:
	s_or_b32 exec_lo, exec_lo, s1
	s_branch .LBB6_447
.LBB6_446:
	s_branch .LBB6_451
.LBB6_447:                              ; =>This Inner Loop Header: Depth=1
	v_mov_b32_e32 v0, 1
	s_and_saveexec_b32 s1, s0
	s_cbranch_execz .LBB6_449
; %bb.448:                              ;   in Loop: Header=BB6_447 Depth=1
	global_load_b32 v0, v[8:9], off offset:20 glc
	s_waitcnt vmcnt(0)
	buffer_gl1_inv
	buffer_gl0_inv
	v_and_b32_e32 v0, 1, v0
.LBB6_449:                              ;   in Loop: Header=BB6_447 Depth=1
	s_or_b32 exec_lo, exec_lo, s1
	s_delay_alu instid0(VALU_DEP_1) | instskip(NEXT) | instid1(VALU_DEP_1)
	v_readfirstlane_b32 s1, v0
	s_cmp_eq_u32 s1, 0
	s_cbranch_scc1 .LBB6_446
; %bb.450:                              ;   in Loop: Header=BB6_447 Depth=1
	s_sleep 1
	s_cbranch_execnz .LBB6_447
.LBB6_451:
	global_load_b64 v[0:1], v[10:11], off
	s_and_saveexec_b32 s1, s0
	s_cbranch_execz .LBB6_455
; %bb.452:
	v_mov_b32_e32 v8, 0
	s_clause 0x2
	global_load_b64 v[4:5], v8, s[2:3] offset:40
	global_load_b64 v[9:10], v8, s[2:3] offset:24 glc
	global_load_b64 v[6:7], v8, s[2:3]
	s_waitcnt vmcnt(2)
	v_add_co_u32 v11, vcc_lo, v4, 1
	v_add_co_ci_u32_e32 v12, vcc_lo, 0, v5, vcc_lo
	s_delay_alu instid0(VALU_DEP_2) | instskip(NEXT) | instid1(VALU_DEP_2)
	v_add_co_u32 v2, vcc_lo, v11, s4
	v_add_co_ci_u32_e32 v3, vcc_lo, s5, v12, vcc_lo
	s_delay_alu instid0(VALU_DEP_1) | instskip(SKIP_1) | instid1(VALU_DEP_1)
	v_cmp_eq_u64_e32 vcc_lo, 0, v[2:3]
	v_dual_cndmask_b32 v3, v3, v12 :: v_dual_cndmask_b32 v2, v2, v11
	v_and_b32_e32 v5, v3, v5
	s_delay_alu instid0(VALU_DEP_2) | instskip(NEXT) | instid1(VALU_DEP_2)
	v_and_b32_e32 v4, v2, v4
	v_mul_lo_u32 v5, v5, 24
	s_delay_alu instid0(VALU_DEP_2) | instskip(SKIP_1) | instid1(VALU_DEP_2)
	v_mul_hi_u32 v11, v4, 24
	v_mul_lo_u32 v4, v4, 24
	v_add_nc_u32_e32 v5, v11, v5
	s_waitcnt vmcnt(0)
	s_delay_alu instid0(VALU_DEP_2) | instskip(SKIP_1) | instid1(VALU_DEP_3)
	v_add_co_u32 v6, vcc_lo, v6, v4
	v_mov_b32_e32 v4, v9
	v_add_co_ci_u32_e32 v7, vcc_lo, v7, v5, vcc_lo
	v_mov_b32_e32 v5, v10
	global_store_b64 v[6:7], v[9:10], off
	s_waitcnt_vscnt null, 0x0
	global_atomic_cmpswap_b64 v[4:5], v8, v[2:5], s[2:3] offset:24 glc
	s_waitcnt vmcnt(0)
	v_cmp_ne_u64_e32 vcc_lo, v[4:5], v[9:10]
	s_and_b32 exec_lo, exec_lo, vcc_lo
	s_cbranch_execz .LBB6_455
; %bb.453:
	s_mov_b32 s0, 0
.LBB6_454:                              ; =>This Inner Loop Header: Depth=1
	s_sleep 1
	global_store_b64 v[6:7], v[4:5], off
	s_waitcnt_vscnt null, 0x0
	global_atomic_cmpswap_b64 v[9:10], v8, v[2:5], s[2:3] offset:24 glc
	s_waitcnt vmcnt(0)
	v_cmp_eq_u64_e32 vcc_lo, v[9:10], v[4:5]
	v_dual_mov_b32 v4, v9 :: v_dual_mov_b32 v5, v10
	s_or_b32 s0, vcc_lo, s0
	s_delay_alu instid0(SALU_CYCLE_1)
	s_and_not1_b32 exec_lo, exec_lo, s0
	s_cbranch_execnz .LBB6_454
.LBB6_455:
	s_or_b32 exec_lo, exec_lo, s1
	s_getpc_b64 s[4:5]
	s_add_u32 s4, s4, .str.28@rel32@lo+4
	s_addc_u32 s5, s5, .str.28@rel32@hi+12
	s_delay_alu instid0(SALU_CYCLE_1)
	s_cmp_lg_u64 s[4:5], 0
	s_cbranch_scc0 .LBB6_540
; %bb.456:
	s_waitcnt vmcnt(0)
	v_dual_mov_b32 v7, v1 :: v_dual_and_b32 v6, -3, v0
	v_dual_mov_b32 v3, 0 :: v_dual_mov_b32 v4, 2
	v_mov_b32_e32 v5, 1
	s_mov_b64 s[6:7], 35
	s_branch .LBB6_458
.LBB6_457:                              ;   in Loop: Header=BB6_458 Depth=1
	s_or_b32 exec_lo, exec_lo, s1
	s_sub_u32 s6, s6, s8
	s_subb_u32 s7, s7, s9
	s_add_u32 s4, s4, s8
	s_addc_u32 s5, s5, s9
	s_cmp_lg_u64 s[6:7], 0
	s_cbranch_scc0 .LBB6_539
.LBB6_458:                              ; =>This Loop Header: Depth=1
                                        ;     Child Loop BB6_461 Depth 2
                                        ;     Child Loop BB6_466 Depth 2
	;; [unrolled: 1-line block ×11, first 2 shown]
	v_cmp_lt_u64_e64 s0, s[6:7], 56
	v_cmp_gt_u64_e64 s1, s[6:7], 7
                                        ; implicit-def: $sgpr14
	s_delay_alu instid0(VALU_DEP_2) | instskip(SKIP_2) | instid1(VALU_DEP_1)
	s_and_b32 s0, s0, exec_lo
	s_cselect_b32 s9, s7, 0
	s_cselect_b32 s8, s6, 56
	s_and_b32 vcc_lo, exec_lo, s1
	s_mov_b32 s0, -1
	s_cbranch_vccnz .LBB6_468
; %bb.459:                              ;   in Loop: Header=BB6_458 Depth=1
	s_waitcnt vmcnt(0)
	v_mov_b32_e32 v8, 0
	v_mov_b32_e32 v9, 0
	s_cmp_eq_u64 s[6:7], 0
	s_mov_b64 s[0:1], 0
	s_cbranch_scc1 .LBB6_462
; %bb.460:                              ;   in Loop: Header=BB6_458 Depth=1
	v_mov_b32_e32 v8, 0
	v_mov_b32_e32 v9, 0
	s_lshl_b64 s[10:11], s[8:9], 3
	s_mov_b64 s[12:13], s[4:5]
.LBB6_461:                              ;   Parent Loop BB6_458 Depth=1
                                        ; =>  This Inner Loop Header: Depth=2
	global_load_u8 v2, v3, s[12:13]
	s_waitcnt vmcnt(0)
	v_and_b32_e32 v2, 0xffff, v2
	s_delay_alu instid0(VALU_DEP_1)
	v_lshlrev_b64 v[10:11], s0, v[2:3]
	s_add_u32 s0, s0, 8
	s_addc_u32 s1, s1, 0
	s_add_u32 s12, s12, 1
	s_addc_u32 s13, s13, 0
	s_cmp_lg_u32 s10, s0
	v_or_b32_e32 v8, v10, v8
	v_or_b32_e32 v9, v11, v9
	s_cbranch_scc1 .LBB6_461
.LBB6_462:                              ;   in Loop: Header=BB6_458 Depth=1
	s_mov_b32 s14, 0
	s_mov_b64 s[0:1], s[4:5]
	s_cbranch_execz .LBB6_469
.LBB6_463:                              ;   in Loop: Header=BB6_458 Depth=1
	s_cmp_gt_u32 s14, 7
	s_cbranch_scc1 .LBB6_470
.LBB6_464:                              ;   in Loop: Header=BB6_458 Depth=1
	v_mov_b32_e32 v10, 0
	v_mov_b32_e32 v11, 0
	s_cmp_eq_u32 s14, 0
	s_cbranch_scc1 .LBB6_467
; %bb.465:                              ;   in Loop: Header=BB6_458 Depth=1
	s_mov_b64 s[10:11], 0
	s_mov_b64 s[12:13], 0
.LBB6_466:                              ;   Parent Loop BB6_458 Depth=1
                                        ; =>  This Inner Loop Header: Depth=2
	s_delay_alu instid0(SALU_CYCLE_1)
	s_add_u32 vcc_lo, s0, s12
	s_addc_u32 vcc_hi, s1, s13
	s_add_u32 s12, s12, 1
	global_load_u8 v2, v3, vcc
	s_addc_u32 s13, s13, 0
	s_waitcnt vmcnt(0)
	v_and_b32_e32 v2, 0xffff, v2
	s_delay_alu instid0(VALU_DEP_1) | instskip(SKIP_3) | instid1(VALU_DEP_1)
	v_lshlrev_b64 v[12:13], s10, v[2:3]
	s_add_u32 s10, s10, 8
	s_addc_u32 s11, s11, 0
	s_cmp_lg_u32 s14, s12
	v_or_b32_e32 v10, v12, v10
	s_delay_alu instid0(VALU_DEP_2)
	v_or_b32_e32 v11, v13, v11
	s_cbranch_scc1 .LBB6_466
.LBB6_467:                              ;   in Loop: Header=BB6_458 Depth=1
	s_mov_b32 s10, 0
	s_mov_b32 s15, 0
	s_branch .LBB6_471
.LBB6_468:                              ;   in Loop: Header=BB6_458 Depth=1
	s_and_not1_b32 vcc_lo, exec_lo, s0
	s_mov_b64 s[0:1], s[4:5]
	s_cbranch_vccnz .LBB6_463
.LBB6_469:                              ;   in Loop: Header=BB6_458 Depth=1
	global_load_b64 v[8:9], v3, s[4:5]
	s_add_i32 s14, s8, -8
	s_add_u32 s0, s4, 8
	s_addc_u32 s1, s5, 0
	s_cmp_gt_u32 s14, 7
	s_cbranch_scc0 .LBB6_464
.LBB6_470:                              ;   in Loop: Header=BB6_458 Depth=1
	s_mov_b32 s10, -1
                                        ; implicit-def: $vgpr10_vgpr11
                                        ; implicit-def: $sgpr15
.LBB6_471:                              ;   in Loop: Header=BB6_458 Depth=1
	s_delay_alu instid0(SALU_CYCLE_1)
	s_and_not1_b32 vcc_lo, exec_lo, s10
	s_cbranch_vccnz .LBB6_473
; %bb.472:                              ;   in Loop: Header=BB6_458 Depth=1
	global_load_b64 v[10:11], v3, s[0:1]
	s_add_i32 s15, s14, -8
	s_add_u32 s0, s0, 8
	s_addc_u32 s1, s1, 0
.LBB6_473:                              ;   in Loop: Header=BB6_458 Depth=1
	s_cmp_gt_u32 s15, 7
	s_cbranch_scc1 .LBB6_478
; %bb.474:                              ;   in Loop: Header=BB6_458 Depth=1
	v_mov_b32_e32 v12, 0
	v_mov_b32_e32 v13, 0
	s_cmp_eq_u32 s15, 0
	s_cbranch_scc1 .LBB6_477
; %bb.475:                              ;   in Loop: Header=BB6_458 Depth=1
	s_mov_b64 s[10:11], 0
	s_mov_b64 s[12:13], 0
.LBB6_476:                              ;   Parent Loop BB6_458 Depth=1
                                        ; =>  This Inner Loop Header: Depth=2
	s_delay_alu instid0(SALU_CYCLE_1)
	s_add_u32 vcc_lo, s0, s12
	s_addc_u32 vcc_hi, s1, s13
	s_add_u32 s12, s12, 1
	global_load_u8 v2, v3, vcc
	s_addc_u32 s13, s13, 0
	s_waitcnt vmcnt(0)
	v_and_b32_e32 v2, 0xffff, v2
	s_delay_alu instid0(VALU_DEP_1) | instskip(SKIP_3) | instid1(VALU_DEP_1)
	v_lshlrev_b64 v[14:15], s10, v[2:3]
	s_add_u32 s10, s10, 8
	s_addc_u32 s11, s11, 0
	s_cmp_lg_u32 s15, s12
	v_or_b32_e32 v12, v14, v12
	s_delay_alu instid0(VALU_DEP_2)
	v_or_b32_e32 v13, v15, v13
	s_cbranch_scc1 .LBB6_476
.LBB6_477:                              ;   in Loop: Header=BB6_458 Depth=1
	s_mov_b32 s10, 0
	s_mov_b32 s14, 0
	s_branch .LBB6_479
.LBB6_478:                              ;   in Loop: Header=BB6_458 Depth=1
	s_mov_b32 s10, -1
                                        ; implicit-def: $sgpr14
.LBB6_479:                              ;   in Loop: Header=BB6_458 Depth=1
	s_delay_alu instid0(SALU_CYCLE_1)
	s_and_not1_b32 vcc_lo, exec_lo, s10
	s_cbranch_vccnz .LBB6_481
; %bb.480:                              ;   in Loop: Header=BB6_458 Depth=1
	global_load_b64 v[12:13], v3, s[0:1]
	s_add_i32 s14, s15, -8
	s_add_u32 s0, s0, 8
	s_addc_u32 s1, s1, 0
.LBB6_481:                              ;   in Loop: Header=BB6_458 Depth=1
	s_cmp_gt_u32 s14, 7
	s_cbranch_scc1 .LBB6_486
; %bb.482:                              ;   in Loop: Header=BB6_458 Depth=1
	v_mov_b32_e32 v14, 0
	v_mov_b32_e32 v15, 0
	s_cmp_eq_u32 s14, 0
	s_cbranch_scc1 .LBB6_485
; %bb.483:                              ;   in Loop: Header=BB6_458 Depth=1
	s_mov_b64 s[10:11], 0
	s_mov_b64 s[12:13], 0
.LBB6_484:                              ;   Parent Loop BB6_458 Depth=1
                                        ; =>  This Inner Loop Header: Depth=2
	s_delay_alu instid0(SALU_CYCLE_1)
	s_add_u32 vcc_lo, s0, s12
	s_addc_u32 vcc_hi, s1, s13
	s_add_u32 s12, s12, 1
	global_load_u8 v2, v3, vcc
	s_addc_u32 s13, s13, 0
	s_waitcnt vmcnt(0)
	v_and_b32_e32 v2, 0xffff, v2
	s_delay_alu instid0(VALU_DEP_1) | instskip(SKIP_3) | instid1(VALU_DEP_1)
	v_lshlrev_b64 v[16:17], s10, v[2:3]
	s_add_u32 s10, s10, 8
	s_addc_u32 s11, s11, 0
	s_cmp_lg_u32 s14, s12
	v_or_b32_e32 v14, v16, v14
	s_delay_alu instid0(VALU_DEP_2)
	v_or_b32_e32 v15, v17, v15
	s_cbranch_scc1 .LBB6_484
.LBB6_485:                              ;   in Loop: Header=BB6_458 Depth=1
	s_mov_b32 s10, 0
	s_mov_b32 s15, 0
	s_branch .LBB6_487
.LBB6_486:                              ;   in Loop: Header=BB6_458 Depth=1
	s_mov_b32 s10, -1
                                        ; implicit-def: $vgpr14_vgpr15
                                        ; implicit-def: $sgpr15
.LBB6_487:                              ;   in Loop: Header=BB6_458 Depth=1
	s_delay_alu instid0(SALU_CYCLE_1)
	s_and_not1_b32 vcc_lo, exec_lo, s10
	s_cbranch_vccnz .LBB6_489
; %bb.488:                              ;   in Loop: Header=BB6_458 Depth=1
	global_load_b64 v[14:15], v3, s[0:1]
	s_add_i32 s15, s14, -8
	s_add_u32 s0, s0, 8
	s_addc_u32 s1, s1, 0
.LBB6_489:                              ;   in Loop: Header=BB6_458 Depth=1
	s_cmp_gt_u32 s15, 7
	s_cbranch_scc1 .LBB6_494
; %bb.490:                              ;   in Loop: Header=BB6_458 Depth=1
	v_mov_b32_e32 v16, 0
	v_mov_b32_e32 v17, 0
	s_cmp_eq_u32 s15, 0
	s_cbranch_scc1 .LBB6_493
; %bb.491:                              ;   in Loop: Header=BB6_458 Depth=1
	s_mov_b64 s[10:11], 0
	s_mov_b64 s[12:13], 0
.LBB6_492:                              ;   Parent Loop BB6_458 Depth=1
                                        ; =>  This Inner Loop Header: Depth=2
	s_delay_alu instid0(SALU_CYCLE_1)
	s_add_u32 vcc_lo, s0, s12
	s_addc_u32 vcc_hi, s1, s13
	s_add_u32 s12, s12, 1
	global_load_u8 v2, v3, vcc
	s_addc_u32 s13, s13, 0
	s_waitcnt vmcnt(0)
	v_and_b32_e32 v2, 0xffff, v2
	s_delay_alu instid0(VALU_DEP_1) | instskip(SKIP_3) | instid1(VALU_DEP_1)
	v_lshlrev_b64 v[18:19], s10, v[2:3]
	s_add_u32 s10, s10, 8
	s_addc_u32 s11, s11, 0
	s_cmp_lg_u32 s15, s12
	v_or_b32_e32 v16, v18, v16
	s_delay_alu instid0(VALU_DEP_2)
	v_or_b32_e32 v17, v19, v17
	s_cbranch_scc1 .LBB6_492
.LBB6_493:                              ;   in Loop: Header=BB6_458 Depth=1
	s_mov_b32 s10, 0
	s_mov_b32 s14, 0
	s_branch .LBB6_495
.LBB6_494:                              ;   in Loop: Header=BB6_458 Depth=1
	s_mov_b32 s10, -1
                                        ; implicit-def: $sgpr14
.LBB6_495:                              ;   in Loop: Header=BB6_458 Depth=1
	s_delay_alu instid0(SALU_CYCLE_1)
	s_and_not1_b32 vcc_lo, exec_lo, s10
	s_cbranch_vccnz .LBB6_497
; %bb.496:                              ;   in Loop: Header=BB6_458 Depth=1
	global_load_b64 v[16:17], v3, s[0:1]
	s_add_i32 s14, s15, -8
	s_add_u32 s0, s0, 8
	s_addc_u32 s1, s1, 0
.LBB6_497:                              ;   in Loop: Header=BB6_458 Depth=1
	s_cmp_gt_u32 s14, 7
	s_cbranch_scc1 .LBB6_502
; %bb.498:                              ;   in Loop: Header=BB6_458 Depth=1
	v_mov_b32_e32 v18, 0
	v_mov_b32_e32 v19, 0
	s_cmp_eq_u32 s14, 0
	s_cbranch_scc1 .LBB6_501
; %bb.499:                              ;   in Loop: Header=BB6_458 Depth=1
	s_mov_b64 s[10:11], 0
	s_mov_b64 s[12:13], 0
.LBB6_500:                              ;   Parent Loop BB6_458 Depth=1
                                        ; =>  This Inner Loop Header: Depth=2
	s_delay_alu instid0(SALU_CYCLE_1)
	s_add_u32 vcc_lo, s0, s12
	s_addc_u32 vcc_hi, s1, s13
	s_add_u32 s12, s12, 1
	global_load_u8 v2, v3, vcc
	s_addc_u32 s13, s13, 0
	s_waitcnt vmcnt(0)
	v_and_b32_e32 v2, 0xffff, v2
	s_delay_alu instid0(VALU_DEP_1) | instskip(SKIP_3) | instid1(VALU_DEP_1)
	v_lshlrev_b64 v[20:21], s10, v[2:3]
	s_add_u32 s10, s10, 8
	s_addc_u32 s11, s11, 0
	s_cmp_lg_u32 s14, s12
	v_or_b32_e32 v18, v20, v18
	s_delay_alu instid0(VALU_DEP_2)
	v_or_b32_e32 v19, v21, v19
	s_cbranch_scc1 .LBB6_500
.LBB6_501:                              ;   in Loop: Header=BB6_458 Depth=1
	s_mov_b32 s10, 0
	s_mov_b32 s15, 0
	s_branch .LBB6_503
.LBB6_502:                              ;   in Loop: Header=BB6_458 Depth=1
	s_mov_b32 s10, -1
                                        ; implicit-def: $vgpr18_vgpr19
                                        ; implicit-def: $sgpr15
.LBB6_503:                              ;   in Loop: Header=BB6_458 Depth=1
	s_delay_alu instid0(SALU_CYCLE_1)
	s_and_not1_b32 vcc_lo, exec_lo, s10
	s_cbranch_vccnz .LBB6_505
; %bb.504:                              ;   in Loop: Header=BB6_458 Depth=1
	global_load_b64 v[18:19], v3, s[0:1]
	s_add_i32 s15, s14, -8
	s_add_u32 s0, s0, 8
	s_addc_u32 s1, s1, 0
.LBB6_505:                              ;   in Loop: Header=BB6_458 Depth=1
	s_cmp_gt_u32 s15, 7
	s_cbranch_scc1 .LBB6_510
; %bb.506:                              ;   in Loop: Header=BB6_458 Depth=1
	v_mov_b32_e32 v20, 0
	v_mov_b32_e32 v21, 0
	s_cmp_eq_u32 s15, 0
	s_cbranch_scc1 .LBB6_509
; %bb.507:                              ;   in Loop: Header=BB6_458 Depth=1
	s_mov_b64 s[10:11], 0
	s_mov_b64 s[12:13], s[0:1]
.LBB6_508:                              ;   Parent Loop BB6_458 Depth=1
                                        ; =>  This Inner Loop Header: Depth=2
	global_load_u8 v2, v3, s[12:13]
	s_add_i32 s15, s15, -1
	s_waitcnt vmcnt(0)
	v_and_b32_e32 v2, 0xffff, v2
	s_delay_alu instid0(VALU_DEP_1)
	v_lshlrev_b64 v[22:23], s10, v[2:3]
	s_add_u32 s10, s10, 8
	s_addc_u32 s11, s11, 0
	s_add_u32 s12, s12, 1
	s_addc_u32 s13, s13, 0
	s_cmp_lg_u32 s15, 0
	v_or_b32_e32 v20, v22, v20
	v_or_b32_e32 v21, v23, v21
	s_cbranch_scc1 .LBB6_508
.LBB6_509:                              ;   in Loop: Header=BB6_458 Depth=1
	s_mov_b32 s10, 0
	s_branch .LBB6_511
.LBB6_510:                              ;   in Loop: Header=BB6_458 Depth=1
	s_mov_b32 s10, -1
.LBB6_511:                              ;   in Loop: Header=BB6_458 Depth=1
	s_delay_alu instid0(SALU_CYCLE_1)
	s_and_not1_b32 vcc_lo, exec_lo, s10
	s_cbranch_vccnz .LBB6_513
; %bb.512:                              ;   in Loop: Header=BB6_458 Depth=1
	global_load_b64 v[20:21], v3, s[0:1]
.LBB6_513:                              ;   in Loop: Header=BB6_458 Depth=1
	v_readfirstlane_b32 s0, v29
	v_mov_b32_e32 v26, 0
	v_mov_b32_e32 v27, 0
	s_delay_alu instid0(VALU_DEP_3) | instskip(NEXT) | instid1(VALU_DEP_1)
	v_cmp_eq_u32_e64 s0, s0, v29
	s_and_saveexec_b32 s1, s0
	s_cbranch_execz .LBB6_519
; %bb.514:                              ;   in Loop: Header=BB6_458 Depth=1
	global_load_b64 v[24:25], v3, s[2:3] offset:24 glc
	s_waitcnt vmcnt(0)
	buffer_gl1_inv
	buffer_gl0_inv
	s_clause 0x1
	global_load_b64 v[22:23], v3, s[2:3] offset:40
	global_load_b64 v[26:27], v3, s[2:3]
	s_mov_b32 s10, exec_lo
	s_waitcnt vmcnt(1)
	v_and_b32_e32 v2, v23, v25
	v_and_b32_e32 v22, v22, v24
	s_delay_alu instid0(VALU_DEP_2) | instskip(NEXT) | instid1(VALU_DEP_2)
	v_mul_lo_u32 v2, v2, 24
	v_mul_hi_u32 v23, v22, 24
	v_mul_lo_u32 v22, v22, 24
	s_delay_alu instid0(VALU_DEP_2) | instskip(SKIP_1) | instid1(VALU_DEP_2)
	v_add_nc_u32_e32 v2, v23, v2
	s_waitcnt vmcnt(0)
	v_add_co_u32 v22, vcc_lo, v26, v22
	s_delay_alu instid0(VALU_DEP_2)
	v_add_co_ci_u32_e32 v23, vcc_lo, v27, v2, vcc_lo
	global_load_b64 v[22:23], v[22:23], off glc
	s_waitcnt vmcnt(0)
	global_atomic_cmpswap_b64 v[26:27], v3, v[22:25], s[2:3] offset:24 glc
	s_waitcnt vmcnt(0)
	buffer_gl1_inv
	buffer_gl0_inv
	v_cmpx_ne_u64_e64 v[26:27], v[24:25]
	s_cbranch_execz .LBB6_518
; %bb.515:                              ;   in Loop: Header=BB6_458 Depth=1
	s_mov_b32 s11, 0
.LBB6_516:                              ;   Parent Loop BB6_458 Depth=1
                                        ; =>  This Inner Loop Header: Depth=2
	s_sleep 1
	s_clause 0x1
	global_load_b64 v[22:23], v3, s[2:3] offset:40
	global_load_b64 v[30:31], v3, s[2:3]
	v_dual_mov_b32 v24, v26 :: v_dual_mov_b32 v25, v27
	s_waitcnt vmcnt(1)
	s_delay_alu instid0(VALU_DEP_1) | instskip(SKIP_1) | instid1(VALU_DEP_1)
	v_and_b32_e32 v2, v22, v24
	s_waitcnt vmcnt(0)
	v_mad_u64_u32 v[26:27], null, v2, 24, v[30:31]
	v_and_b32_e32 v30, v23, v25
	s_delay_alu instid0(VALU_DEP_2) | instskip(NEXT) | instid1(VALU_DEP_1)
	v_mov_b32_e32 v2, v27
	v_mad_u64_u32 v[22:23], null, v30, 24, v[2:3]
	s_delay_alu instid0(VALU_DEP_1)
	v_mov_b32_e32 v27, v22
	global_load_b64 v[22:23], v[26:27], off glc
	s_waitcnt vmcnt(0)
	global_atomic_cmpswap_b64 v[26:27], v3, v[22:25], s[2:3] offset:24 glc
	s_waitcnt vmcnt(0)
	buffer_gl1_inv
	buffer_gl0_inv
	v_cmp_eq_u64_e32 vcc_lo, v[26:27], v[24:25]
	s_or_b32 s11, vcc_lo, s11
	s_delay_alu instid0(SALU_CYCLE_1)
	s_and_not1_b32 exec_lo, exec_lo, s11
	s_cbranch_execnz .LBB6_516
; %bb.517:                              ;   in Loop: Header=BB6_458 Depth=1
	s_or_b32 exec_lo, exec_lo, s11
.LBB6_518:                              ;   in Loop: Header=BB6_458 Depth=1
	s_delay_alu instid0(SALU_CYCLE_1)
	s_or_b32 exec_lo, exec_lo, s10
.LBB6_519:                              ;   in Loop: Header=BB6_458 Depth=1
	s_delay_alu instid0(SALU_CYCLE_1)
	s_or_b32 exec_lo, exec_lo, s1
	s_clause 0x1
	global_load_b64 v[30:31], v3, s[2:3] offset:40
	global_load_b128 v[22:25], v3, s[2:3]
	v_readfirstlane_b32 s10, v26
	v_readfirstlane_b32 s11, v27
	s_mov_b32 s1, exec_lo
	s_waitcnt vmcnt(1)
	v_readfirstlane_b32 s12, v30
	v_readfirstlane_b32 s13, v31
	s_delay_alu instid0(VALU_DEP_1) | instskip(NEXT) | instid1(SALU_CYCLE_1)
	s_and_b64 s[12:13], s[10:11], s[12:13]
	s_mul_i32 s14, s13, 24
	s_mul_hi_u32 s15, s12, 24
	s_mul_i32 s16, s12, 24
	s_add_i32 s15, s15, s14
	s_waitcnt vmcnt(0)
	v_add_co_u32 v26, vcc_lo, v22, s16
	v_add_co_ci_u32_e32 v27, vcc_lo, s15, v23, vcc_lo
	s_and_saveexec_b32 s14, s0
	s_cbranch_execz .LBB6_521
; %bb.520:                              ;   in Loop: Header=BB6_458 Depth=1
	v_mov_b32_e32 v2, s1
	global_store_b128 v[26:27], v[2:5], off offset:8
.LBB6_521:                              ;   in Loop: Header=BB6_458 Depth=1
	s_or_b32 exec_lo, exec_lo, s14
	s_lshl_b64 s[12:13], s[12:13], 12
	v_or_b32_e32 v2, 2, v6
	v_add_co_u32 v24, vcc_lo, v24, s12
	v_add_co_ci_u32_e32 v25, vcc_lo, s13, v25, vcc_lo
	v_cmp_gt_u64_e64 vcc_lo, s[6:7], 56
	s_lshl_b32 s1, s8, 2
	s_delay_alu instid0(VALU_DEP_3) | instskip(SKIP_4) | instid1(VALU_DEP_1)
	v_readfirstlane_b32 s12, v24
	s_add_i32 s1, s1, 28
	v_readfirstlane_b32 s13, v25
	s_and_b32 s1, s1, 0x1e0
	v_cndmask_b32_e32 v2, v2, v6, vcc_lo
	v_and_or_b32 v6, 0xffffff1f, v2, s1
	s_clause 0x3
	global_store_b128 v28, v[6:9], s[12:13]
	global_store_b128 v28, v[10:13], s[12:13] offset:16
	global_store_b128 v28, v[14:17], s[12:13] offset:32
	;; [unrolled: 1-line block ×3, first 2 shown]
	s_and_saveexec_b32 s1, s0
	s_cbranch_execz .LBB6_529
; %bb.522:                              ;   in Loop: Header=BB6_458 Depth=1
	s_clause 0x1
	global_load_b64 v[14:15], v3, s[2:3] offset:32 glc
	global_load_b64 v[6:7], v3, s[2:3] offset:40
	v_dual_mov_b32 v12, s10 :: v_dual_mov_b32 v13, s11
	s_waitcnt vmcnt(0)
	v_readfirstlane_b32 s12, v6
	v_readfirstlane_b32 s13, v7
	s_delay_alu instid0(VALU_DEP_1) | instskip(NEXT) | instid1(SALU_CYCLE_1)
	s_and_b64 s[12:13], s[12:13], s[10:11]
	s_mul_i32 s13, s13, 24
	s_mul_hi_u32 s14, s12, 24
	s_mul_i32 s12, s12, 24
	s_add_i32 s14, s14, s13
	v_add_co_u32 v10, vcc_lo, v22, s12
	v_add_co_ci_u32_e32 v11, vcc_lo, s14, v23, vcc_lo
	s_mov_b32 s12, exec_lo
	global_store_b64 v[10:11], v[14:15], off
	s_waitcnt_vscnt null, 0x0
	global_atomic_cmpswap_b64 v[8:9], v3, v[12:15], s[2:3] offset:32 glc
	s_waitcnt vmcnt(0)
	v_cmpx_ne_u64_e64 v[8:9], v[14:15]
	s_cbranch_execz .LBB6_525
; %bb.523:                              ;   in Loop: Header=BB6_458 Depth=1
	s_mov_b32 s13, 0
.LBB6_524:                              ;   Parent Loop BB6_458 Depth=1
                                        ; =>  This Inner Loop Header: Depth=2
	v_dual_mov_b32 v6, s10 :: v_dual_mov_b32 v7, s11
	s_sleep 1
	global_store_b64 v[10:11], v[8:9], off
	s_waitcnt_vscnt null, 0x0
	global_atomic_cmpswap_b64 v[6:7], v3, v[6:9], s[2:3] offset:32 glc
	s_waitcnt vmcnt(0)
	v_cmp_eq_u64_e32 vcc_lo, v[6:7], v[8:9]
	v_dual_mov_b32 v9, v7 :: v_dual_mov_b32 v8, v6
	s_or_b32 s13, vcc_lo, s13
	s_delay_alu instid0(SALU_CYCLE_1)
	s_and_not1_b32 exec_lo, exec_lo, s13
	s_cbranch_execnz .LBB6_524
.LBB6_525:                              ;   in Loop: Header=BB6_458 Depth=1
	s_or_b32 exec_lo, exec_lo, s12
	global_load_b64 v[6:7], v3, s[2:3] offset:16
	s_mov_b32 s13, exec_lo
	s_mov_b32 s12, exec_lo
	v_mbcnt_lo_u32_b32 v2, s13, 0
	s_delay_alu instid0(VALU_DEP_1)
	v_cmpx_eq_u32_e32 0, v2
	s_cbranch_execz .LBB6_527
; %bb.526:                              ;   in Loop: Header=BB6_458 Depth=1
	s_bcnt1_i32_b32 s13, s13
	s_delay_alu instid0(SALU_CYCLE_1)
	v_mov_b32_e32 v2, s13
	s_waitcnt vmcnt(0)
	global_atomic_add_u64 v[6:7], v[2:3], off offset:8
.LBB6_527:                              ;   in Loop: Header=BB6_458 Depth=1
	s_or_b32 exec_lo, exec_lo, s12
	s_waitcnt vmcnt(0)
	global_load_b64 v[8:9], v[6:7], off offset:16
	s_waitcnt vmcnt(0)
	v_cmp_eq_u64_e32 vcc_lo, 0, v[8:9]
	s_cbranch_vccnz .LBB6_529
; %bb.528:                              ;   in Loop: Header=BB6_458 Depth=1
	global_load_b32 v2, v[6:7], off offset:24
	s_waitcnt vmcnt(0)
	v_and_b32_e32 v6, 0xffffff, v2
	s_waitcnt_vscnt null, 0x0
	global_store_b64 v[8:9], v[2:3], off
	v_readfirstlane_b32 m0, v6
	s_sendmsg sendmsg(MSG_INTERRUPT)
.LBB6_529:                              ;   in Loop: Header=BB6_458 Depth=1
	s_or_b32 exec_lo, exec_lo, s1
	v_add_co_u32 v6, vcc_lo, v24, v28
	v_add_co_ci_u32_e32 v7, vcc_lo, 0, v25, vcc_lo
	s_branch .LBB6_531
.LBB6_530:                              ;   in Loop: Header=BB6_458 Depth=1
	s_branch .LBB6_535
.LBB6_531:                              ;   Parent Loop BB6_458 Depth=1
                                        ; =>  This Inner Loop Header: Depth=2
	v_mov_b32_e32 v2, 1
	s_and_saveexec_b32 s1, s0
	s_cbranch_execz .LBB6_533
; %bb.532:                              ;   in Loop: Header=BB6_531 Depth=2
	global_load_b32 v2, v[26:27], off offset:20 glc
	s_waitcnt vmcnt(0)
	buffer_gl1_inv
	buffer_gl0_inv
	v_and_b32_e32 v2, 1, v2
.LBB6_533:                              ;   in Loop: Header=BB6_531 Depth=2
	s_or_b32 exec_lo, exec_lo, s1
	s_delay_alu instid0(VALU_DEP_1) | instskip(NEXT) | instid1(VALU_DEP_1)
	v_readfirstlane_b32 s1, v2
	s_cmp_eq_u32 s1, 0
	s_cbranch_scc1 .LBB6_530
; %bb.534:                              ;   in Loop: Header=BB6_531 Depth=2
	s_sleep 1
	s_cbranch_execnz .LBB6_531
.LBB6_535:                              ;   in Loop: Header=BB6_458 Depth=1
	global_load_b128 v[6:9], v[6:7], off
	s_and_saveexec_b32 s1, s0
	s_cbranch_execz .LBB6_457
; %bb.536:                              ;   in Loop: Header=BB6_458 Depth=1
	s_clause 0x2
	global_load_b64 v[10:11], v3, s[2:3] offset:40
	global_load_b64 v[14:15], v3, s[2:3] offset:24 glc
	global_load_b64 v[12:13], v3, s[2:3]
	s_waitcnt vmcnt(2)
	v_add_co_u32 v2, vcc_lo, v10, 1
	v_add_co_ci_u32_e32 v16, vcc_lo, 0, v11, vcc_lo
	s_delay_alu instid0(VALU_DEP_2) | instskip(NEXT) | instid1(VALU_DEP_2)
	v_add_co_u32 v8, vcc_lo, v2, s10
	v_add_co_ci_u32_e32 v9, vcc_lo, s11, v16, vcc_lo
	s_delay_alu instid0(VALU_DEP_1) | instskip(SKIP_1) | instid1(VALU_DEP_1)
	v_cmp_eq_u64_e32 vcc_lo, 0, v[8:9]
	v_dual_cndmask_b32 v9, v9, v16 :: v_dual_cndmask_b32 v8, v8, v2
	v_and_b32_e32 v2, v9, v11
	s_delay_alu instid0(VALU_DEP_2) | instskip(NEXT) | instid1(VALU_DEP_2)
	v_and_b32_e32 v10, v8, v10
	v_mul_lo_u32 v2, v2, 24
	s_delay_alu instid0(VALU_DEP_2) | instskip(SKIP_1) | instid1(VALU_DEP_2)
	v_mul_hi_u32 v11, v10, 24
	v_mul_lo_u32 v10, v10, 24
	v_add_nc_u32_e32 v2, v11, v2
	s_waitcnt vmcnt(1)
	v_mov_b32_e32 v11, v15
	s_waitcnt vmcnt(0)
	s_delay_alu instid0(VALU_DEP_3)
	v_add_co_u32 v12, vcc_lo, v12, v10
	v_mov_b32_e32 v10, v14
	v_add_co_ci_u32_e32 v13, vcc_lo, v13, v2, vcc_lo
	global_store_b64 v[12:13], v[14:15], off
	s_waitcnt_vscnt null, 0x0
	global_atomic_cmpswap_b64 v[10:11], v3, v[8:11], s[2:3] offset:24 glc
	s_waitcnt vmcnt(0)
	v_cmp_ne_u64_e32 vcc_lo, v[10:11], v[14:15]
	s_and_b32 exec_lo, exec_lo, vcc_lo
	s_cbranch_execz .LBB6_457
; %bb.537:                              ;   in Loop: Header=BB6_458 Depth=1
	s_mov_b32 s0, 0
.LBB6_538:                              ;   Parent Loop BB6_458 Depth=1
                                        ; =>  This Inner Loop Header: Depth=2
	s_sleep 1
	global_store_b64 v[12:13], v[10:11], off
	s_waitcnt_vscnt null, 0x0
	global_atomic_cmpswap_b64 v[14:15], v3, v[8:11], s[2:3] offset:24 glc
	s_waitcnt vmcnt(0)
	v_cmp_eq_u64_e32 vcc_lo, v[14:15], v[10:11]
	v_dual_mov_b32 v10, v14 :: v_dual_mov_b32 v11, v15
	s_or_b32 s0, vcc_lo, s0
	s_delay_alu instid0(SALU_CYCLE_1)
	s_and_not1_b32 exec_lo, exec_lo, s0
	s_cbranch_execnz .LBB6_538
	s_branch .LBB6_457
.LBB6_539:
	s_mov_b32 s0, 0
	s_branch .LBB6_541
.LBB6_540:
	s_mov_b32 s0, -1
.LBB6_541:
	s_delay_alu instid0(SALU_CYCLE_1)
	s_and_b32 vcc_lo, exec_lo, s0
	s_cbranch_vccz .LBB6_569
; %bb.542:
	v_readfirstlane_b32 s0, v29
	s_waitcnt vmcnt(0)
	v_mov_b32_e32 v8, 0
	v_mov_b32_e32 v9, 0
	s_delay_alu instid0(VALU_DEP_3) | instskip(NEXT) | instid1(VALU_DEP_1)
	v_cmp_eq_u32_e64 s0, s0, v29
	s_and_saveexec_b32 s1, s0
	s_cbranch_execz .LBB6_548
; %bb.543:
	v_mov_b32_e32 v2, 0
	s_mov_b32 s4, exec_lo
	global_load_b64 v[5:6], v2, s[2:3] offset:24 glc
	s_waitcnt vmcnt(0)
	buffer_gl1_inv
	buffer_gl0_inv
	s_clause 0x1
	global_load_b64 v[3:4], v2, s[2:3] offset:40
	global_load_b64 v[7:8], v2, s[2:3]
	s_waitcnt vmcnt(1)
	v_and_b32_e32 v3, v3, v5
	v_and_b32_e32 v4, v4, v6
	s_delay_alu instid0(VALU_DEP_2) | instskip(NEXT) | instid1(VALU_DEP_2)
	v_mul_hi_u32 v9, v3, 24
	v_mul_lo_u32 v4, v4, 24
	v_mul_lo_u32 v3, v3, 24
	s_delay_alu instid0(VALU_DEP_2) | instskip(SKIP_1) | instid1(VALU_DEP_2)
	v_add_nc_u32_e32 v4, v9, v4
	s_waitcnt vmcnt(0)
	v_add_co_u32 v3, vcc_lo, v7, v3
	s_delay_alu instid0(VALU_DEP_2)
	v_add_co_ci_u32_e32 v4, vcc_lo, v8, v4, vcc_lo
	global_load_b64 v[3:4], v[3:4], off glc
	s_waitcnt vmcnt(0)
	global_atomic_cmpswap_b64 v[8:9], v2, v[3:6], s[2:3] offset:24 glc
	s_waitcnt vmcnt(0)
	buffer_gl1_inv
	buffer_gl0_inv
	v_cmpx_ne_u64_e64 v[8:9], v[5:6]
	s_cbranch_execz .LBB6_547
; %bb.544:
	s_mov_b32 s5, 0
.LBB6_545:                              ; =>This Inner Loop Header: Depth=1
	s_sleep 1
	s_clause 0x1
	global_load_b64 v[3:4], v2, s[2:3] offset:40
	global_load_b64 v[10:11], v2, s[2:3]
	v_dual_mov_b32 v5, v8 :: v_dual_mov_b32 v6, v9
	s_waitcnt vmcnt(1)
	s_delay_alu instid0(VALU_DEP_1) | instskip(NEXT) | instid1(VALU_DEP_2)
	v_and_b32_e32 v3, v3, v5
	v_and_b32_e32 v4, v4, v6
	s_waitcnt vmcnt(0)
	s_delay_alu instid0(VALU_DEP_2) | instskip(NEXT) | instid1(VALU_DEP_1)
	v_mad_u64_u32 v[7:8], null, v3, 24, v[10:11]
	v_mov_b32_e32 v3, v8
	s_delay_alu instid0(VALU_DEP_1)
	v_mad_u64_u32 v[8:9], null, v4, 24, v[3:4]
	global_load_b64 v[3:4], v[7:8], off glc
	s_waitcnt vmcnt(0)
	global_atomic_cmpswap_b64 v[8:9], v2, v[3:6], s[2:3] offset:24 glc
	s_waitcnt vmcnt(0)
	buffer_gl1_inv
	buffer_gl0_inv
	v_cmp_eq_u64_e32 vcc_lo, v[8:9], v[5:6]
	s_or_b32 s5, vcc_lo, s5
	s_delay_alu instid0(SALU_CYCLE_1)
	s_and_not1_b32 exec_lo, exec_lo, s5
	s_cbranch_execnz .LBB6_545
; %bb.546:
	s_or_b32 exec_lo, exec_lo, s5
.LBB6_547:
	s_delay_alu instid0(SALU_CYCLE_1)
	s_or_b32 exec_lo, exec_lo, s4
.LBB6_548:
	s_delay_alu instid0(SALU_CYCLE_1)
	s_or_b32 exec_lo, exec_lo, s1
	v_mov_b32_e32 v2, 0
	v_readfirstlane_b32 s4, v8
	v_readfirstlane_b32 s5, v9
	s_mov_b32 s1, exec_lo
	s_clause 0x1
	global_load_b64 v[10:11], v2, s[2:3] offset:40
	global_load_b128 v[4:7], v2, s[2:3]
	s_waitcnt vmcnt(1)
	v_readfirstlane_b32 s6, v10
	v_readfirstlane_b32 s7, v11
	s_delay_alu instid0(VALU_DEP_1) | instskip(NEXT) | instid1(SALU_CYCLE_1)
	s_and_b64 s[6:7], s[4:5], s[6:7]
	s_mul_i32 s8, s7, 24
	s_mul_hi_u32 s9, s6, 24
	s_mul_i32 s10, s6, 24
	s_add_i32 s9, s9, s8
	s_waitcnt vmcnt(0)
	v_add_co_u32 v8, vcc_lo, v4, s10
	v_add_co_ci_u32_e32 v9, vcc_lo, s9, v5, vcc_lo
	s_and_saveexec_b32 s8, s0
	s_cbranch_execz .LBB6_550
; %bb.549:
	v_dual_mov_b32 v10, s1 :: v_dual_mov_b32 v11, v2
	v_dual_mov_b32 v12, 2 :: v_dual_mov_b32 v13, 1
	global_store_b128 v[8:9], v[10:13], off offset:8
.LBB6_550:
	s_or_b32 exec_lo, exec_lo, s8
	s_lshl_b64 s[6:7], s[6:7], 12
	s_mov_b32 s8, 0
	v_add_co_u32 v6, vcc_lo, v6, s6
	v_add_co_ci_u32_e32 v7, vcc_lo, s7, v7, vcc_lo
	s_mov_b32 s11, s8
	s_mov_b32 s9, s8
	s_mov_b32 s10, s8
	v_and_or_b32 v0, 0xffffff1d, v0, 34
	v_mov_b32_e32 v3, v2
	v_readfirstlane_b32 s6, v6
	v_readfirstlane_b32 s7, v7
	v_dual_mov_b32 v13, s11 :: v_dual_mov_b32 v10, s8
	v_dual_mov_b32 v12, s10 :: v_dual_mov_b32 v11, s9
	s_clause 0x3
	global_store_b128 v28, v[0:3], s[6:7]
	global_store_b128 v28, v[10:13], s[6:7] offset:16
	global_store_b128 v28, v[10:13], s[6:7] offset:32
	;; [unrolled: 1-line block ×3, first 2 shown]
	s_and_saveexec_b32 s1, s0
	s_cbranch_execz .LBB6_558
; %bb.551:
	v_dual_mov_b32 v6, 0 :: v_dual_mov_b32 v11, s5
	v_mov_b32_e32 v10, s4
	s_clause 0x1
	global_load_b64 v[12:13], v6, s[2:3] offset:32 glc
	global_load_b64 v[0:1], v6, s[2:3] offset:40
	s_waitcnt vmcnt(0)
	v_readfirstlane_b32 s6, v0
	v_readfirstlane_b32 s7, v1
	s_delay_alu instid0(VALU_DEP_1) | instskip(NEXT) | instid1(SALU_CYCLE_1)
	s_and_b64 s[6:7], s[6:7], s[4:5]
	s_mul_i32 s7, s7, 24
	s_mul_hi_u32 s8, s6, 24
	s_mul_i32 s6, s6, 24
	s_add_i32 s8, s8, s7
	v_add_co_u32 v4, vcc_lo, v4, s6
	v_add_co_ci_u32_e32 v5, vcc_lo, s8, v5, vcc_lo
	s_mov_b32 s6, exec_lo
	global_store_b64 v[4:5], v[12:13], off
	s_waitcnt_vscnt null, 0x0
	global_atomic_cmpswap_b64 v[2:3], v6, v[10:13], s[2:3] offset:32 glc
	s_waitcnt vmcnt(0)
	v_cmpx_ne_u64_e64 v[2:3], v[12:13]
	s_cbranch_execz .LBB6_554
; %bb.552:
	s_mov_b32 s7, 0
.LBB6_553:                              ; =>This Inner Loop Header: Depth=1
	v_dual_mov_b32 v0, s4 :: v_dual_mov_b32 v1, s5
	s_sleep 1
	global_store_b64 v[4:5], v[2:3], off
	s_waitcnt_vscnt null, 0x0
	global_atomic_cmpswap_b64 v[0:1], v6, v[0:3], s[2:3] offset:32 glc
	s_waitcnt vmcnt(0)
	v_cmp_eq_u64_e32 vcc_lo, v[0:1], v[2:3]
	v_dual_mov_b32 v3, v1 :: v_dual_mov_b32 v2, v0
	s_or_b32 s7, vcc_lo, s7
	s_delay_alu instid0(SALU_CYCLE_1)
	s_and_not1_b32 exec_lo, exec_lo, s7
	s_cbranch_execnz .LBB6_553
.LBB6_554:
	s_or_b32 exec_lo, exec_lo, s6
	v_mov_b32_e32 v3, 0
	s_mov_b32 s7, exec_lo
	s_mov_b32 s6, exec_lo
	v_mbcnt_lo_u32_b32 v2, s7, 0
	global_load_b64 v[0:1], v3, s[2:3] offset:16
	v_cmpx_eq_u32_e32 0, v2
	s_cbranch_execz .LBB6_556
; %bb.555:
	s_bcnt1_i32_b32 s7, s7
	s_delay_alu instid0(SALU_CYCLE_1)
	v_mov_b32_e32 v2, s7
	s_waitcnt vmcnt(0)
	global_atomic_add_u64 v[0:1], v[2:3], off offset:8
.LBB6_556:
	s_or_b32 exec_lo, exec_lo, s6
	s_waitcnt vmcnt(0)
	global_load_b64 v[2:3], v[0:1], off offset:16
	s_waitcnt vmcnt(0)
	v_cmp_eq_u64_e32 vcc_lo, 0, v[2:3]
	s_cbranch_vccnz .LBB6_558
; %bb.557:
	global_load_b32 v0, v[0:1], off offset:24
	s_waitcnt vmcnt(0)
	v_dual_mov_b32 v1, 0 :: v_dual_and_b32 v4, 0xffffff, v0
	s_waitcnt_vscnt null, 0x0
	global_store_b64 v[2:3], v[0:1], off
	v_readfirstlane_b32 m0, v4
	s_sendmsg sendmsg(MSG_INTERRUPT)
.LBB6_558:
	s_or_b32 exec_lo, exec_lo, s1
	s_branch .LBB6_560
.LBB6_559:
	s_branch .LBB6_564
.LBB6_560:                              ; =>This Inner Loop Header: Depth=1
	v_mov_b32_e32 v0, 1
	s_and_saveexec_b32 s1, s0
	s_cbranch_execz .LBB6_562
; %bb.561:                              ;   in Loop: Header=BB6_560 Depth=1
	global_load_b32 v0, v[8:9], off offset:20 glc
	s_waitcnt vmcnt(0)
	buffer_gl1_inv
	buffer_gl0_inv
	v_and_b32_e32 v0, 1, v0
.LBB6_562:                              ;   in Loop: Header=BB6_560 Depth=1
	s_or_b32 exec_lo, exec_lo, s1
	s_delay_alu instid0(VALU_DEP_1) | instskip(NEXT) | instid1(VALU_DEP_1)
	v_readfirstlane_b32 s1, v0
	s_cmp_eq_u32 s1, 0
	s_cbranch_scc1 .LBB6_559
; %bb.563:                              ;   in Loop: Header=BB6_560 Depth=1
	s_sleep 1
	s_cbranch_execnz .LBB6_560
.LBB6_564:
	s_and_saveexec_b32 s1, s0
	s_cbranch_execz .LBB6_568
; %bb.565:
	v_mov_b32_e32 v6, 0
	s_clause 0x2
	global_load_b64 v[2:3], v6, s[2:3] offset:40
	global_load_b64 v[7:8], v6, s[2:3] offset:24 glc
	global_load_b64 v[4:5], v6, s[2:3]
	s_waitcnt vmcnt(2)
	v_add_co_u32 v9, vcc_lo, v2, 1
	v_add_co_ci_u32_e32 v10, vcc_lo, 0, v3, vcc_lo
	s_delay_alu instid0(VALU_DEP_2) | instskip(NEXT) | instid1(VALU_DEP_2)
	v_add_co_u32 v0, vcc_lo, v9, s4
	v_add_co_ci_u32_e32 v1, vcc_lo, s5, v10, vcc_lo
	s_delay_alu instid0(VALU_DEP_1) | instskip(SKIP_1) | instid1(VALU_DEP_1)
	v_cmp_eq_u64_e32 vcc_lo, 0, v[0:1]
	v_dual_cndmask_b32 v1, v1, v10 :: v_dual_cndmask_b32 v0, v0, v9
	v_and_b32_e32 v3, v1, v3
	s_delay_alu instid0(VALU_DEP_2) | instskip(NEXT) | instid1(VALU_DEP_2)
	v_and_b32_e32 v2, v0, v2
	v_mul_lo_u32 v3, v3, 24
	s_delay_alu instid0(VALU_DEP_2) | instskip(SKIP_1) | instid1(VALU_DEP_2)
	v_mul_hi_u32 v9, v2, 24
	v_mul_lo_u32 v2, v2, 24
	v_add_nc_u32_e32 v3, v9, v3
	s_waitcnt vmcnt(0)
	s_delay_alu instid0(VALU_DEP_2) | instskip(SKIP_1) | instid1(VALU_DEP_3)
	v_add_co_u32 v4, vcc_lo, v4, v2
	v_mov_b32_e32 v2, v7
	v_add_co_ci_u32_e32 v5, vcc_lo, v5, v3, vcc_lo
	v_mov_b32_e32 v3, v8
	global_store_b64 v[4:5], v[7:8], off
	s_waitcnt_vscnt null, 0x0
	global_atomic_cmpswap_b64 v[2:3], v6, v[0:3], s[2:3] offset:24 glc
	s_waitcnt vmcnt(0)
	v_cmp_ne_u64_e32 vcc_lo, v[2:3], v[7:8]
	s_and_b32 exec_lo, exec_lo, vcc_lo
	s_cbranch_execz .LBB6_568
; %bb.566:
	s_mov_b32 s0, 0
.LBB6_567:                              ; =>This Inner Loop Header: Depth=1
	s_sleep 1
	global_store_b64 v[4:5], v[2:3], off
	s_waitcnt_vscnt null, 0x0
	global_atomic_cmpswap_b64 v[7:8], v6, v[0:3], s[2:3] offset:24 glc
	s_waitcnt vmcnt(0)
	v_cmp_eq_u64_e32 vcc_lo, v[7:8], v[2:3]
	v_dual_mov_b32 v2, v7 :: v_dual_mov_b32 v3, v8
	s_or_b32 s0, vcc_lo, s0
	s_delay_alu instid0(SALU_CYCLE_1)
	s_and_not1_b32 exec_lo, exec_lo, s0
	s_cbranch_execnz .LBB6_567
.LBB6_568:
	s_or_b32 exec_lo, exec_lo, s1
.LBB6_569:
	s_getpc_b64 s[0:1]
	s_add_u32 s0, s0, .str.29@rel32@lo+4
	s_addc_u32 s1, s1, .str.29@rel32@hi+12
	s_getpc_b64 s[2:3]
	s_add_u32 s2, s2, .str.19@rel32@lo+4
	s_addc_u32 s3, s3, .str.19@rel32@hi+12
	s_getpc_b64 s[4:5]
	s_add_u32 s4, s4, __PRETTY_FUNCTION__._ZN7VecsMemIjLi8192EE5fetchEi@rel32@lo+4
	s_addc_u32 s5, s5, __PRETTY_FUNCTION__._ZN7VecsMemIjLi8192EE5fetchEi@rel32@hi+12
	s_waitcnt vmcnt(0)
	v_dual_mov_b32 v0, s0 :: v_dual_mov_b32 v1, s1
	v_dual_mov_b32 v2, s2 :: v_dual_mov_b32 v3, s3
	;; [unrolled: 1-line block ×3, first 2 shown]
	v_mov_b32_e32 v6, s5
	s_mov_b64 s[8:9], s[44:45]
	s_getpc_b64 s[6:7]
	s_add_u32 s6, s6, __assert_fail@rel32@lo+4
	s_addc_u32 s7, s7, __assert_fail@rel32@hi+12
	s_delay_alu instid0(SALU_CYCLE_1)
	s_swappc_b64 s[30:31], s[6:7]
	s_or_b32 s0, s20, exec_lo
.LBB6_570:
	s_or_b32 exec_lo, exec_lo, s17
	s_delay_alu instid0(SALU_CYCLE_1) | instskip(SKIP_1) | instid1(SALU_CYCLE_1)
	s_and_not1_b32 s1, s20, exec_lo
	s_and_b32 s0, s0, exec_lo
	s_or_b32 s17, s1, s0
	s_or_not1_b32 s0, s27, exec_lo
.LBB6_571:
	s_or_b32 exec_lo, exec_lo, s26
	s_mov_b32 s1, 0
                                        ; implicit-def: $vgpr40
	s_and_saveexec_b32 s39, s0
	s_cbranch_execz .LBB6_744
; %bb.572:
	v_mov_b32_e32 v68, 0
	s_mov_b32 s26, 0
	s_mov_b32 s0, -1
	s_mov_b32 s51, 0
	s_mov_b32 s8, exec_lo
	scratch_store_b64 off, v[53:54], s33 offset:136
	v_cmpx_lt_i32_e32 0, v46
	s_cbranch_execz .LBB6_626
; %bb.573:
	scratch_load_b64 v[0:1], off, s33 offset:152
	v_add_co_u32 v2, s0, v62, 4
	v_cmp_lt_i32_e32 vcc_lo, 0, v64
	v_add_co_ci_u32_e64 v3, s0, 0, v63, s0
	v_dual_mov_b32 v6, 0 :: v_dual_mov_b32 v5, 0
	v_mov_b32_e32 v12, 0
	s_mov_b32 s5, 0
	s_mov_b32 s10, 0
	;; [unrolled: 1-line block ×3, first 2 shown]
                                        ; implicit-def: $sgpr9
	s_branch .LBB6_575
.LBB6_574:                              ;   in Loop: Header=BB6_575 Depth=1
	s_or_b32 exec_lo, exec_lo, s3
	s_xor_b32 s1, s1, -1
	s_and_b32 s0, exec_lo, s0
	s_delay_alu instid0(SALU_CYCLE_1) | instskip(SKIP_2) | instid1(SALU_CYCLE_1)
	s_or_b32 s10, s0, s10
	s_and_not1_b32 s0, s9, exec_lo
	s_and_b32 s1, s1, exec_lo
	s_or_b32 s9, s0, s1
	s_and_not1_b32 exec_lo, exec_lo, s10
	s_cbranch_execz .LBB6_623
.LBB6_575:                              ; =>This Loop Header: Depth=1
                                        ;     Child Loop BB6_579 Depth 2
                                        ;     Child Loop BB6_586 Depth 2
                                        ;       Child Loop BB6_590 Depth 3
                                        ;     Child Loop BB6_601 Depth 2
                                        ;       Child Loop BB6_607 Depth 3
	s_mov_b32 s7, s5
	s_mov_b32 s2, -1
	s_lshl_b64 s[0:1], s[6:7], 2
	s_mov_b32 s7, exec_lo
	v_add_co_u32 v8, s0, v62, s0
	s_delay_alu instid0(VALU_DEP_1)
	v_add_co_ci_u32_e64 v9, s0, s1, v63, s0
                                        ; implicit-def: $sgpr1
	flat_load_b32 v4, v[8:9]
	s_waitcnt vmcnt(0) lgkmcnt(0)
	v_cmpx_lt_i32_e32 -1, v4
	s_cbranch_execz .LBB6_621
; %bb.576:                              ;   in Loop: Header=BB6_575 Depth=1
	v_mov_b32_e32 v7, -1
	v_mov_b32_e32 v13, 0
	s_and_saveexec_b32 s2, vcc_lo
	s_cbranch_execz .LBB6_582
; %bb.577:                              ;   in Loop: Header=BB6_575 Depth=1
	v_dual_mov_b32 v11, v1 :: v_dual_mov_b32 v10, v0
	s_mov_b32 s3, 0
	s_mov_b32 s4, 0
                                        ; implicit-def: $sgpr11
	s_branch .LBB6_579
.LBB6_578:                              ;   in Loop: Header=BB6_579 Depth=2
	s_or_b32 exec_lo, exec_lo, s12
	s_delay_alu instid0(SALU_CYCLE_1) | instskip(NEXT) | instid1(SALU_CYCLE_1)
	s_and_b32 s0, exec_lo, s11
	s_or_b32 s3, s0, s3
	s_delay_alu instid0(SALU_CYCLE_1)
	s_and_not1_b32 exec_lo, exec_lo, s3
	s_cbranch_execz .LBB6_581
.LBB6_579:                              ;   Parent Loop BB6_575 Depth=1
                                        ; =>  This Inner Loop Header: Depth=2
	flat_load_b32 v7, v[10:11]
	s_or_b32 s11, s11, exec_lo
	s_waitcnt vmcnt(0) lgkmcnt(0)
	v_and_b32_e32 v13, v7, v4
	s_delay_alu instid0(VALU_DEP_1) | instskip(SKIP_1) | instid1(VALU_DEP_2)
	v_cmp_ne_u32_e64 s0, v13, v7
	v_mov_b32_e32 v13, s4
	s_and_saveexec_b32 s12, s0
	s_cbranch_execz .LBB6_578
; %bb.580:                              ;   in Loop: Header=BB6_579 Depth=2
	s_add_i32 s4, s4, 1
	v_add_co_u32 v10, s1, v10, 4
	v_cmp_eq_u32_e64 s0, s4, v64
	v_add_co_ci_u32_e64 v11, s1, 0, v11, s1
	v_mov_b32_e32 v13, v64
	s_and_not1_b32 s1, s11, exec_lo
	s_delay_alu instid0(VALU_DEP_3) | instskip(NEXT) | instid1(SALU_CYCLE_1)
	s_and_b32 s0, s0, exec_lo
	s_or_b32 s11, s1, s0
	s_branch .LBB6_578
.LBB6_581:                              ;   in Loop: Header=BB6_575 Depth=1
	s_or_b32 exec_lo, exec_lo, s3
.LBB6_582:                              ;   in Loop: Header=BB6_575 Depth=1
	s_delay_alu instid0(SALU_CYCLE_1)
	s_or_b32 exec_lo, exec_lo, s2
	s_mov_b32 s2, -1
	s_mov_b32 s11, exec_lo
                                        ; implicit-def: $sgpr1
	v_cmpx_ne_u32_e64 v13, v64
	s_cbranch_execz .LBB6_620
; %bb.583:                              ;   in Loop: Header=BB6_575 Depth=1
	v_not_b32_e32 v7, v7
	s_delay_alu instid0(VALU_DEP_1)
	v_dual_mov_b32 v7, 0 :: v_dual_and_b32 v14, v4, v7
	s_and_saveexec_b32 s12, vcc_lo
	s_cbranch_execz .LBB6_597
; %bb.584:                              ;   in Loop: Header=BB6_575 Depth=1
	v_cmp_lt_i32_e64 s0, 0, v46
	s_mov_b32 s13, 0
	s_delay_alu instid0(SALU_CYCLE_1)
	s_mov_b32 s4, s13
	s_branch .LBB6_586
.LBB6_585:                              ;   in Loop: Header=BB6_586 Depth=2
	s_or_b32 exec_lo, exec_lo, s3
	s_delay_alu instid0(SALU_CYCLE_1) | instskip(NEXT) | instid1(SALU_CYCLE_1)
	s_and_b32 s1, exec_lo, s14
	s_or_b32 s13, s1, s13
	s_delay_alu instid0(SALU_CYCLE_1)
	s_and_not1_b32 exec_lo, exec_lo, s13
	s_cbranch_execz .LBB6_596
.LBB6_586:                              ;   Parent Loop BB6_575 Depth=1
                                        ; =>  This Loop Header: Depth=2
                                        ;       Child Loop BB6_590 Depth 3
	s_mov_b32 s14, -1
	s_mov_b32 s2, -1
	s_mov_b32 s15, exec_lo
	v_cmpx_ne_u32_e64 s4, v13
	s_cbranch_execz .LBB6_594
; %bb.587:                              ;   in Loop: Header=BB6_586 Depth=2
	v_mov_b32_e32 v16, 0
	s_and_saveexec_b32 s16, s0
	s_cbranch_execz .LBB6_593
; %bb.588:                              ;   in Loop: Header=BB6_586 Depth=2
	s_lshl_b64 s[2:3], s[4:5], 2
	s_mov_b32 s27, 0
	v_add_co_u32 v10, s1, v0, s2
	s_delay_alu instid0(VALU_DEP_1)
	v_add_co_ci_u32_e64 v11, s1, s3, v1, s1
	s_mov_b32 vcc_hi, 0
                                        ; implicit-def: $sgpr30
	flat_load_b32 v7, v[10:11]
	v_dual_mov_b32 v10, v62 :: v_dual_mov_b32 v11, v63
	s_waitcnt vmcnt(0) lgkmcnt(0)
	v_not_b32_e32 v15, v7
	s_set_inst_prefetch_distance 0x1
	s_branch .LBB6_590
	.p2align	6
.LBB6_589:                              ;   in Loop: Header=BB6_590 Depth=3
	s_or_b32 exec_lo, exec_lo, s3
	s_delay_alu instid0(SALU_CYCLE_1) | instskip(NEXT) | instid1(SALU_CYCLE_1)
	s_and_b32 s1, exec_lo, s30
	s_or_b32 s27, s1, s27
	s_delay_alu instid0(SALU_CYCLE_1)
	s_and_not1_b32 exec_lo, exec_lo, s27
	s_cbranch_execz .LBB6_592
.LBB6_590:                              ;   Parent Loop BB6_575 Depth=1
                                        ;     Parent Loop BB6_586 Depth=2
                                        ; =>    This Inner Loop Header: Depth=3
	flat_load_b32 v12, v[10:11]
	s_or_b32 s30, s30, exec_lo
	s_waitcnt vmcnt(0) lgkmcnt(0)
	v_and_b32_e32 v16, v12, v7
	v_and_b32_e32 v17, v12, v15
	v_cmp_gt_i32_e64 s3, 0, v12
	s_delay_alu instid0(VALU_DEP_3) | instskip(SKIP_1) | instid1(VALU_DEP_4)
	v_cmp_ne_u32_e64 s1, v16, v7
	v_mov_b32_e32 v16, vcc_hi
	v_cmp_ne_u32_e64 s2, v14, v17
	s_delay_alu instid0(VALU_DEP_1) | instskip(NEXT) | instid1(SALU_CYCLE_1)
	s_or_b32 s1, s1, s2
	s_or_b32 s1, s1, s3
	s_delay_alu instid0(SALU_CYCLE_1)
	s_and_saveexec_b32 s3, s1
	s_cbranch_execz .LBB6_589
; %bb.591:                              ;   in Loop: Header=BB6_590 Depth=3
	s_add_i32 vcc_hi, vcc_hi, 1
	v_add_co_u32 v10, s2, v10, 4
	v_cmp_eq_u32_e64 s1, vcc_hi, v46
	v_add_co_ci_u32_e64 v11, s2, 0, v11, s2
	v_mov_b32_e32 v16, v46
	s_and_not1_b32 s2, s30, exec_lo
	s_delay_alu instid0(VALU_DEP_3) | instskip(NEXT) | instid1(SALU_CYCLE_1)
	s_and_b32 s1, s1, exec_lo
	s_or_b32 s30, s2, s1
	s_branch .LBB6_589
.LBB6_592:                              ;   in Loop: Header=BB6_586 Depth=2
	s_set_inst_prefetch_distance 0x2
	s_or_b32 exec_lo, exec_lo, s27
.LBB6_593:                              ;   in Loop: Header=BB6_586 Depth=2
	s_delay_alu instid0(SALU_CYCLE_1) | instskip(NEXT) | instid1(VALU_DEP_1)
	s_or_b32 exec_lo, exec_lo, s16
	v_cmp_ne_u32_e64 s1, v16, v46
	s_delay_alu instid0(VALU_DEP_1)
	s_or_not1_b32 s2, s1, exec_lo
.LBB6_594:                              ;   in Loop: Header=BB6_586 Depth=2
	s_or_b32 exec_lo, exec_lo, s15
	v_mov_b32_e32 v7, s4
	s_and_saveexec_b32 s3, s2
	s_cbranch_execz .LBB6_585
; %bb.595:                              ;   in Loop: Header=BB6_586 Depth=2
	s_add_i32 s4, s4, 1
	v_mov_b32_e32 v7, v64
	v_cmp_eq_u32_e64 s1, s4, v64
	s_delay_alu instid0(VALU_DEP_1)
	s_or_not1_b32 s14, s1, exec_lo
	s_branch .LBB6_585
.LBB6_596:                              ;   in Loop: Header=BB6_575 Depth=1
	s_or_b32 exec_lo, exec_lo, s13
.LBB6_597:                              ;   in Loop: Header=BB6_575 Depth=1
	s_delay_alu instid0(SALU_CYCLE_1) | instskip(NEXT) | instid1(VALU_DEP_1)
	s_or_b32 exec_lo, exec_lo, s12
	v_cmp_ne_u32_e64 s0, v7, v64
	s_mov_b32 s12, exec_lo
                                        ; implicit-def: $sgpr2
	v_cmpx_eq_u32_e64 v7, v64
	s_cbranch_execz .LBB6_619
; %bb.598:                              ;   in Loop: Header=BB6_575 Depth=1
	v_ashrrev_i32_e32 v7, 31, v6
	v_or_b32_e32 v4, 0x80000000, v4
                                        ; implicit-def: $sgpr2
	s_delay_alu instid0(VALU_DEP_2) | instskip(NEXT) | instid1(VALU_DEP_1)
	v_lshlrev_b64 v[10:11], 2, v[6:7]
	v_add_co_u32 v15, s1, v53, v10
	s_delay_alu instid0(VALU_DEP_1)
	v_add_co_ci_u32_e64 v16, s1, v54, v11, s1
	v_add_nc_u32_e32 v10, 1, v6
	s_mov_b32 s1, -1
	flat_store_b32 v[15:16], v14
	flat_store_b32 v[8:9], v4
	s_and_saveexec_b32 s13, vcc_lo
	s_cbranch_execz .LBB6_618
; %bb.599:                              ;   in Loop: Header=BB6_575 Depth=1
	s_mov_b32 s14, 0
                                        ; implicit-def: $sgpr15
                                        ; implicit-def: $sgpr16
	s_delay_alu instid0(SALU_CYCLE_1)
	s_mov_b32 s4, s14
	s_branch .LBB6_601
.LBB6_600:                              ;   in Loop: Header=BB6_601 Depth=2
	s_or_b32 exec_lo, exec_lo, vcc_hi
	s_xor_b32 s1, s3, -1
	s_and_b32 s3, exec_lo, s27
	s_delay_alu instid0(SALU_CYCLE_1)
	s_or_b32 s14, s3, s14
	s_and_not1_b32 s3, s16, exec_lo
	s_and_b32 s1, s1, exec_lo
	s_and_not1_b32 s15, s15, exec_lo
	s_and_b32 s2, s2, exec_lo
	s_or_b32 s16, s3, s1
	s_or_b32 s15, s15, s2
	s_and_not1_b32 exec_lo, exec_lo, s14
	s_cbranch_execz .LBB6_617
.LBB6_601:                              ;   Parent Loop BB6_575 Depth=1
                                        ; =>  This Loop Header: Depth=2
                                        ;       Child Loop BB6_607 Depth 3
	s_mov_b32 s27, -1
	s_mov_b32 s30, -1
	s_mov_b32 vcc_hi, exec_lo
                                        ; implicit-def: $sgpr2
	v_cmpx_ne_u32_e64 s4, v13
	s_cbranch_execz .LBB6_615
; %bb.602:                              ;   in Loop: Header=BB6_601 Depth=2
	flat_load_b32 v8, v[60:61] offset:4
	v_mov_b32_e32 v4, 0
	s_mov_b32 s30, 0
	s_mov_b32 s2, 0
	s_mov_b32 s31, exec_lo
	s_waitcnt vmcnt(0) lgkmcnt(0)
	v_cmpx_lt_i32_e32 0, v8
	s_cbranch_execz .LBB6_612
; %bb.603:                              ;   in Loop: Header=BB6_601 Depth=2
	s_lshl_b64 s[2:3], s[4:5], 2
	s_delay_alu instid0(SALU_CYCLE_1) | instskip(NEXT) | instid1(VALU_DEP_1)
	v_add_co_u32 v6, s1, v0, s2
	v_add_co_ci_u32_e64 v7, s1, s3, v1, s1
	flat_load_b32 v9, v[6:7]
	flat_load_b32 v12, v[62:63]
	s_waitcnt vmcnt(1) lgkmcnt(1)
	v_not_b32_e32 v11, v9
	s_waitcnt vmcnt(0) lgkmcnt(0)
	v_and_b32_e32 v4, v12, v9
	v_cmp_gt_i32_e64 s3, 0, v12
	s_delay_alu instid0(VALU_DEP_3) | instskip(NEXT) | instid1(VALU_DEP_3)
	v_and_b32_e32 v6, v12, v11
	v_cmp_ne_u32_e64 s1, v4, v9
	v_mov_b32_e32 v4, 0
	s_delay_alu instid0(VALU_DEP_3) | instskip(NEXT) | instid1(VALU_DEP_1)
	v_cmp_ne_u32_e64 s2, v14, v6
	s_or_b32 s1, s1, s2
	s_delay_alu instid0(SALU_CYCLE_1)
	s_or_b32 s2, s1, s3
	s_mov_b32 s1, -1
	s_and_saveexec_b32 s38, s2
	s_cbranch_execz .LBB6_611
; %bb.604:                              ;   in Loop: Header=BB6_601 Depth=2
	v_mov_b32_e32 v4, 1
	s_mov_b32 s41, 1
	s_mov_b32 s40, exec_lo
	v_cmpx_ne_u32_e32 1, v8
	s_cbranch_execz .LBB6_610
; %bb.605:                              ;   in Loop: Header=BB6_601 Depth=2
	v_dual_mov_b32 v7, v3 :: v_dual_mov_b32 v6, v2
	s_mov_b32 s42, 0
                                        ; implicit-def: $sgpr43
	s_set_inst_prefetch_distance 0x1
	s_branch .LBB6_607
.LBB6_606:                              ;   in Loop: Header=BB6_607 Depth=3
	s_or_b32 exec_lo, exec_lo, s3
	s_delay_alu instid0(SALU_CYCLE_1) | instskip(NEXT) | instid1(SALU_CYCLE_1)
	s_and_b32 s1, exec_lo, s43
	s_or_b32 s42, s1, s42
	s_delay_alu instid0(SALU_CYCLE_1)
	s_and_not1_b32 exec_lo, exec_lo, s42
	s_cbranch_execz .LBB6_609
.LBB6_607:                              ;   Parent Loop BB6_575 Depth=1
                                        ;     Parent Loop BB6_601 Depth=2
                                        ; =>    This Inner Loop Header: Depth=3
	flat_load_b32 v12, v[6:7]
	s_or_b32 s43, s43, exec_lo
	s_waitcnt vmcnt(0) lgkmcnt(0)
	v_and_b32_e32 v4, v12, v9
	v_and_b32_e32 v15, v12, v11
	v_cmp_gt_i32_e64 s3, 0, v12
	s_delay_alu instid0(VALU_DEP_3) | instskip(SKIP_1) | instid1(VALU_DEP_4)
	v_cmp_ne_u32_e64 s1, v4, v9
	v_mov_b32_e32 v4, s41
	v_cmp_ne_u32_e64 s2, v14, v15
	s_delay_alu instid0(VALU_DEP_1) | instskip(NEXT) | instid1(SALU_CYCLE_1)
	s_or_b32 s1, s1, s2
	s_or_b32 s1, s1, s3
	s_delay_alu instid0(SALU_CYCLE_1)
	s_and_saveexec_b32 s3, s1
	s_cbranch_execz .LBB6_606
; %bb.608:                              ;   in Loop: Header=BB6_607 Depth=3
	s_add_i32 s41, s41, 1
	v_add_co_u32 v6, s2, v6, 4
	v_cmp_eq_u32_e64 s1, s41, v8
	v_add_co_ci_u32_e64 v7, s2, 0, v7, s2
	v_mov_b32_e32 v4, v8
	s_and_not1_b32 s2, s43, exec_lo
	s_delay_alu instid0(VALU_DEP_3) | instskip(NEXT) | instid1(SALU_CYCLE_1)
	s_and_b32 s1, s1, exec_lo
	s_or_b32 s43, s2, s1
	s_branch .LBB6_606
.LBB6_609:                              ;   in Loop: Header=BB6_601 Depth=2
	s_set_inst_prefetch_distance 0x2
	s_or_b32 exec_lo, exec_lo, s42
.LBB6_610:                              ;   in Loop: Header=BB6_601 Depth=2
	s_delay_alu instid0(SALU_CYCLE_1) | instskip(SKIP_1) | instid1(VALU_DEP_1)
	s_or_b32 exec_lo, exec_lo, s40
	v_cmp_lt_i32_e64 s1, v4, v8
	s_or_not1_b32 s1, s1, exec_lo
.LBB6_611:                              ;   in Loop: Header=BB6_601 Depth=2
	s_or_b32 exec_lo, exec_lo, s38
	s_delay_alu instid0(SALU_CYCLE_1)
	s_and_b32 s2, s1, exec_lo
.LBB6_612:                              ;   in Loop: Header=BB6_601 Depth=2
	s_or_b32 exec_lo, exec_lo, s31
	s_and_saveexec_b32 s3, s2
	s_cbranch_execz .LBB6_614
; %bb.613:                              ;   in Loop: Header=BB6_601 Depth=2
	v_lshlrev_b64 v[6:7], 2, v[4:5]
	v_or_b32_e32 v4, 0x80000000, v12
	s_mov_b32 s30, exec_lo
	s_delay_alu instid0(VALU_DEP_2) | instskip(NEXT) | instid1(VALU_DEP_1)
	v_add_co_u32 v6, s1, v62, v6
	v_add_co_ci_u32_e64 v7, s1, v63, v7, s1
	flat_store_b32 v[6:7], v4
.LBB6_614:                              ;   in Loop: Header=BB6_601 Depth=2
	s_or_b32 exec_lo, exec_lo, s3
	s_mov_b32 s2, -1
	s_or_not1_b32 s30, s30, exec_lo
.LBB6_615:                              ;   in Loop: Header=BB6_601 Depth=2
	s_or_b32 exec_lo, exec_lo, vcc_hi
	s_mov_b32 s3, s2
	s_and_saveexec_b32 vcc_hi, s30
	s_cbranch_execz .LBB6_600
; %bb.616:                              ;   in Loop: Header=BB6_601 Depth=2
	s_add_i32 s4, s4, 1
	s_and_not1_b32 s3, s2, exec_lo
	v_cmp_eq_u32_e64 s1, s4, v64
	s_delay_alu instid0(VALU_DEP_1)
	s_or_not1_b32 s27, s1, exec_lo
	s_branch .LBB6_600
.LBB6_617:                              ;   in Loop: Header=BB6_575 Depth=1
	s_or_b32 exec_lo, exec_lo, s14
	s_delay_alu instid0(SALU_CYCLE_1)
	s_and_b32 s2, s15, exec_lo
	s_or_not1_b32 s1, s16, exec_lo
.LBB6_618:                              ;   in Loop: Header=BB6_575 Depth=1
	s_or_b32 exec_lo, exec_lo, s13
	v_mov_b32_e32 v6, v10
	s_and_not1_b32 s0, s0, exec_lo
	s_and_b32 s1, s1, exec_lo
	s_and_b32 s2, s2, exec_lo
	s_or_b32 s0, s0, s1
.LBB6_619:                              ;   in Loop: Header=BB6_575 Depth=1
	s_or_b32 exec_lo, exec_lo, s12
	s_delay_alu instid0(SALU_CYCLE_1)
	s_and_b32 s1, s2, exec_lo
	s_or_not1_b32 s2, s0, exec_lo
.LBB6_620:                              ;   in Loop: Header=BB6_575 Depth=1
	s_or_b32 exec_lo, exec_lo, s11
	s_delay_alu instid0(SALU_CYCLE_1)
	s_and_b32 s1, s1, exec_lo
	s_or_not1_b32 s2, s2, exec_lo
.LBB6_621:                              ;   in Loop: Header=BB6_575 Depth=1
	s_or_b32 exec_lo, exec_lo, s7
	s_mov_b32 s0, -1
                                        ; implicit-def: $vgpr46
	s_and_saveexec_b32 s3, s2
	s_cbranch_execz .LBB6_574
; %bb.622:                              ;   in Loop: Header=BB6_575 Depth=1
	flat_load_b32 v46, v[60:61] offset:4
	s_add_i32 s6, s6, 1
	s_and_not1_b32 s1, s1, exec_lo
	s_waitcnt vmcnt(0) lgkmcnt(0)
	v_cmp_ge_i32_e64 s0, s6, v46
	s_delay_alu instid0(VALU_DEP_1)
	s_or_not1_b32 s0, s0, exec_lo
	s_branch .LBB6_574
.LBB6_623:
	s_or_b32 exec_lo, exec_lo, s10
	v_mov_b32_e32 v68, 0
	s_mov_b32 s0, 0
	s_mov_b32 s1, -1
	s_and_saveexec_b32 s2, s9
	s_delay_alu instid0(SALU_CYCLE_1)
	s_xor_b32 s2, exec_lo, s2
	s_cbranch_execz .LBB6_625
; %bb.624:
	v_mov_b32_e32 v68, v6
	s_mov_b32 s0, exec_lo
	s_xor_b32 s1, exec_lo, -1
	scratch_store_b32 off, v6, s33 offset:132
.LBB6_625:
	s_or_b32 exec_lo, exec_lo, s2
	s_delay_alu instid0(SALU_CYCLE_1)
	s_and_b32 s51, s1, exec_lo
	s_or_not1_b32 s0, s0, exec_lo
.LBB6_626:
	s_or_b32 exec_lo, exec_lo, s8
	s_mov_b32 s27, s17
                                        ; implicit-def: $vgpr40
	s_and_saveexec_b32 s40, s0
	s_cbranch_execz .LBB6_741
; %bb.627:
	v_mul_lo_u32 v69, v68, v64
	v_dual_mov_b32 v0, 0 :: v_dual_mov_b32 v65, 0
	v_mov_b32_e32 v66, 0
	s_mov_b32 s0, -1
	s_mov_b32 s52, s17
	s_mov_b32 s27, exec_lo
	scratch_store_b32 off, v0, s33 offset:164
	v_sub_nc_u32_e32 v64, v46, v69
	s_delay_alu instid0(VALU_DEP_1)
	v_cmpx_lt_i32_e32 0, v64
	s_cbranch_execz .LBB6_1205
; %bb.628:
	flat_load_b32 v0, v[58:59]
	s_mov_b32 s38, 0
	s_mov_b32 s0, exec_lo
	v_mov_b32_e32 v65, 0
	v_mov_b32_e32 v66, 0
	s_waitcnt vmcnt(0) lgkmcnt(0)
	v_add_nc_u32_e32 v0, v0, v64
	s_delay_alu instid0(VALU_DEP_1)
	v_cmpx_gt_i32_e32 0x2001, v0
	s_xor_b32 s0, exec_lo, s0
	s_cbranch_execz .LBB6_630
; %bb.629:
	v_ashrrev_i32_e32 v1, 31, v0
	v_mov_b32_e32 v65, 0
	s_mov_b32 s38, exec_lo
	flat_store_b32 v[58:59], v0
	v_lshlrev_b64 v[1:2], 2, v[0:1]
	v_lshlrev_b64 v[3:4], 2, v[64:65]
	s_delay_alu instid0(VALU_DEP_2) | instskip(NEXT) | instid1(VALU_DEP_3)
	v_add_co_u32 v1, vcc_lo, v58, v1
	v_add_co_ci_u32_e32 v2, vcc_lo, v59, v2, vcc_lo
	s_delay_alu instid0(VALU_DEP_2) | instskip(NEXT) | instid1(VALU_DEP_2)
	v_sub_co_u32 v1, vcc_lo, v1, v3
	v_sub_co_ci_u32_e32 v2, vcc_lo, v2, v4, vcc_lo
	s_delay_alu instid0(VALU_DEP_2) | instskip(NEXT) | instid1(VALU_DEP_2)
	v_add_co_u32 v65, vcc_lo, v1, 4
	v_add_co_ci_u32_e32 v66, vcc_lo, 0, v2, vcc_lo
.LBB6_630:
	s_or_saveexec_b32 s26, s0
	s_mov_b32 s0, s17
	s_xor_b32 exec_lo, exec_lo, s26
	s_cbranch_execz .LBB6_1204
; %bb.631:
	s_load_b64 s[2:3], s[44:45], 0x50
	v_mbcnt_lo_u32_b32 v28, -1, 0
	v_mov_b32_e32 v6, 0
	v_mov_b32_e32 v7, 0
	s_delay_alu instid0(VALU_DEP_3) | instskip(NEXT) | instid1(VALU_DEP_1)
	v_readfirstlane_b32 s0, v28
	v_cmp_eq_u32_e64 s0, s0, v28
	s_delay_alu instid0(VALU_DEP_1)
	s_and_saveexec_b32 s1, s0
	s_cbranch_execz .LBB6_637
; %bb.632:
	v_mov_b32_e32 v0, 0
	s_mov_b32 s4, exec_lo
	s_waitcnt lgkmcnt(0)
	global_load_b64 v[3:4], v0, s[2:3] offset:24 glc
	s_waitcnt vmcnt(0)
	buffer_gl1_inv
	buffer_gl0_inv
	s_clause 0x1
	global_load_b64 v[1:2], v0, s[2:3] offset:40
	global_load_b64 v[5:6], v0, s[2:3]
	s_waitcnt vmcnt(1)
	v_and_b32_e32 v1, v1, v3
	v_and_b32_e32 v2, v2, v4
	s_delay_alu instid0(VALU_DEP_2) | instskip(NEXT) | instid1(VALU_DEP_2)
	v_mul_hi_u32 v7, v1, 24
	v_mul_lo_u32 v2, v2, 24
	v_mul_lo_u32 v1, v1, 24
	s_delay_alu instid0(VALU_DEP_2) | instskip(SKIP_1) | instid1(VALU_DEP_2)
	v_add_nc_u32_e32 v2, v7, v2
	s_waitcnt vmcnt(0)
	v_add_co_u32 v1, vcc_lo, v5, v1
	s_delay_alu instid0(VALU_DEP_2)
	v_add_co_ci_u32_e32 v2, vcc_lo, v6, v2, vcc_lo
	global_load_b64 v[1:2], v[1:2], off glc
	s_waitcnt vmcnt(0)
	global_atomic_cmpswap_b64 v[6:7], v0, v[1:4], s[2:3] offset:24 glc
	s_waitcnt vmcnt(0)
	buffer_gl1_inv
	buffer_gl0_inv
	v_cmpx_ne_u64_e64 v[6:7], v[3:4]
	s_cbranch_execz .LBB6_636
; %bb.633:
	s_mov_b32 s5, s37
	s_mov_b32 s7, 0
.LBB6_634:                              ; =>This Inner Loop Header: Depth=1
	s_sleep 1
	s_clause 0x1
	global_load_b64 v[1:2], v0, s[2:3] offset:40
	global_load_b64 v[8:9], v0, s[2:3]
	v_dual_mov_b32 v3, v6 :: v_dual_mov_b32 v4, v7
	s_waitcnt vmcnt(1)
	s_delay_alu instid0(VALU_DEP_1) | instskip(NEXT) | instid1(VALU_DEP_2)
	v_and_b32_e32 v1, v1, v3
	v_and_b32_e32 v2, v2, v4
	s_waitcnt vmcnt(0)
	s_delay_alu instid0(VALU_DEP_2) | instskip(NEXT) | instid1(VALU_DEP_1)
	v_mad_u64_u32 v[5:6], null, v1, 24, v[8:9]
	v_mov_b32_e32 v1, v6
	s_delay_alu instid0(VALU_DEP_1)
	v_mad_u64_u32 v[6:7], null, v2, 24, v[1:2]
	global_load_b64 v[1:2], v[5:6], off glc
	s_waitcnt vmcnt(0)
	global_atomic_cmpswap_b64 v[6:7], v0, v[1:4], s[2:3] offset:24 glc
	s_waitcnt vmcnt(0)
	buffer_gl1_inv
	buffer_gl0_inv
	v_cmp_eq_u64_e32 vcc_lo, v[6:7], v[3:4]
	s_or_b32 s7, vcc_lo, s7
	s_delay_alu instid0(SALU_CYCLE_1)
	s_and_not1_b32 exec_lo, exec_lo, s7
	s_cbranch_execnz .LBB6_634
; %bb.635:
	s_or_b32 exec_lo, exec_lo, s7
	s_mov_b32 s35, 0
	s_mov_b32 s37, s5
.LBB6_636:
	s_or_b32 exec_lo, exec_lo, s4
.LBB6_637:
	s_delay_alu instid0(SALU_CYCLE_1)
	s_or_b32 exec_lo, exec_lo, s1
	v_mov_b32_e32 v5, 0
	v_readfirstlane_b32 s4, v6
	v_readfirstlane_b32 s5, v7
	s_mov_b32 s1, exec_lo
	s_waitcnt lgkmcnt(0)
	s_clause 0x1
	global_load_b64 v[8:9], v5, s[2:3] offset:40
	global_load_b128 v[0:3], v5, s[2:3]
	s_waitcnt vmcnt(1)
	v_readfirstlane_b32 s6, v8
	v_readfirstlane_b32 s7, v9
	s_delay_alu instid0(VALU_DEP_1) | instskip(NEXT) | instid1(SALU_CYCLE_1)
	s_and_b64 s[6:7], s[4:5], s[6:7]
	s_mul_i32 s8, s7, 24
	s_mul_hi_u32 s9, s6, 24
	s_mul_i32 s10, s6, 24
	s_add_i32 s9, s9, s8
	s_waitcnt vmcnt(0)
	v_add_co_u32 v8, vcc_lo, v0, s10
	v_add_co_ci_u32_e32 v9, vcc_lo, s9, v1, vcc_lo
	s_and_saveexec_b32 s8, s0
	s_cbranch_execz .LBB6_639
; %bb.638:
	v_dual_mov_b32 v4, s1 :: v_dual_mov_b32 v7, 1
	v_mov_b32_e32 v6, 2
	global_store_b128 v[8:9], v[4:7], off offset:8
.LBB6_639:
	s_or_b32 exec_lo, exec_lo, s8
	s_lshl_b64 s[6:7], s[6:7], 12
	v_dual_mov_b32 v4, 33 :: v_dual_lshlrev_b32 v29, 6, v28
	v_add_co_u32 v2, vcc_lo, v2, s6
	v_add_co_ci_u32_e32 v3, vcc_lo, s7, v3, vcc_lo
	s_mov_b32 s8, 0
	s_delay_alu instid0(VALU_DEP_2)
	v_add_co_u32 v10, vcc_lo, v2, v29
	s_mov_b32 s11, s8
	s_mov_b32 s9, s8
	;; [unrolled: 1-line block ×3, first 2 shown]
	v_dual_mov_b32 v6, v5 :: v_dual_mov_b32 v15, s11
	v_dual_mov_b32 v7, v5 :: v_dual_mov_b32 v14, s10
	v_readfirstlane_b32 s6, v2
	v_readfirstlane_b32 s7, v3
	v_add_co_ci_u32_e32 v11, vcc_lo, 0, v3, vcc_lo
	v_dual_mov_b32 v13, s9 :: v_dual_mov_b32 v12, s8
	s_clause 0x3
	global_store_b128 v29, v[4:7], s[6:7]
	global_store_b128 v29, v[12:15], s[6:7] offset:16
	global_store_b128 v29, v[12:15], s[6:7] offset:32
	global_store_b128 v29, v[12:15], s[6:7] offset:48
	s_and_saveexec_b32 s1, s0
	s_cbranch_execz .LBB6_647
; %bb.640:
	v_mov_b32_e32 v6, 0
	s_mov_b32 s6, s37
	s_mov_b32 s8, exec_lo
	s_clause 0x1
	global_load_b64 v[14:15], v6, s[2:3] offset:32 glc
	global_load_b64 v[2:3], v6, s[2:3] offset:40
	v_dual_mov_b32 v13, s5 :: v_dual_mov_b32 v12, s4
	s_waitcnt vmcnt(0)
	v_and_b32_e32 v3, s5, v3
	v_and_b32_e32 v2, s4, v2
	s_delay_alu instid0(VALU_DEP_2) | instskip(NEXT) | instid1(VALU_DEP_2)
	v_mul_lo_u32 v3, v3, 24
	v_mul_hi_u32 v4, v2, 24
	v_mul_lo_u32 v2, v2, 24
	s_delay_alu instid0(VALU_DEP_2) | instskip(NEXT) | instid1(VALU_DEP_2)
	v_add_nc_u32_e32 v3, v4, v3
	v_add_co_u32 v4, vcc_lo, v0, v2
	s_delay_alu instid0(VALU_DEP_2)
	v_add_co_ci_u32_e32 v5, vcc_lo, v1, v3, vcc_lo
	global_store_b64 v[4:5], v[14:15], off
	s_waitcnt_vscnt null, 0x0
	global_atomic_cmpswap_b64 v[2:3], v6, v[12:15], s[2:3] offset:32 glc
	s_waitcnt vmcnt(0)
	v_cmpx_ne_u64_e64 v[2:3], v[14:15]
	s_cbranch_execz .LBB6_643
; %bb.641:
	s_mov_b32 s9, 0
.LBB6_642:                              ; =>This Inner Loop Header: Depth=1
	v_dual_mov_b32 v0, s4 :: v_dual_mov_b32 v1, s5
	s_sleep 1
	global_store_b64 v[4:5], v[2:3], off
	s_waitcnt_vscnt null, 0x0
	global_atomic_cmpswap_b64 v[0:1], v6, v[0:3], s[2:3] offset:32 glc
	s_waitcnt vmcnt(0)
	v_cmp_eq_u64_e32 vcc_lo, v[0:1], v[2:3]
	v_dual_mov_b32 v3, v1 :: v_dual_mov_b32 v2, v0
	s_or_b32 s9, vcc_lo, s9
	s_delay_alu instid0(SALU_CYCLE_1)
	s_and_not1_b32 exec_lo, exec_lo, s9
	s_cbranch_execnz .LBB6_642
.LBB6_643:
	s_or_b32 exec_lo, exec_lo, s8
	v_mov_b32_e32 v3, 0
	s_mov_b32 s9, exec_lo
	s_mov_b32 s8, exec_lo
	v_mbcnt_lo_u32_b32 v2, s9, 0
	global_load_b64 v[0:1], v3, s[2:3] offset:16
	v_cmpx_eq_u32_e32 0, v2
	s_cbranch_execz .LBB6_645
; %bb.644:
	s_bcnt1_i32_b32 s9, s9
	s_delay_alu instid0(SALU_CYCLE_1)
	v_mov_b32_e32 v2, s9
	s_waitcnt vmcnt(0)
	global_atomic_add_u64 v[0:1], v[2:3], off offset:8
.LBB6_645:
	s_or_b32 exec_lo, exec_lo, s8
	s_waitcnt vmcnt(0)
	global_load_b64 v[2:3], v[0:1], off offset:16
	s_mov_b32 s35, 0
	s_mov_b32 s37, s6
	s_waitcnt vmcnt(0)
	v_cmp_eq_u64_e32 vcc_lo, 0, v[2:3]
	s_cbranch_vccnz .LBB6_647
; %bb.646:
	global_load_b32 v0, v[0:1], off offset:24
	s_waitcnt vmcnt(0)
	v_dual_mov_b32 v1, 0 :: v_dual_and_b32 v4, 0xffffff, v0
	s_waitcnt_vscnt null, 0x0
	global_store_b64 v[2:3], v[0:1], off
	v_readfirstlane_b32 m0, v4
	s_sendmsg sendmsg(MSG_INTERRUPT)
.LBB6_647:
	s_or_b32 exec_lo, exec_lo, s1
	s_branch .LBB6_649
.LBB6_648:
	s_branch .LBB6_653
.LBB6_649:                              ; =>This Inner Loop Header: Depth=1
	v_mov_b32_e32 v0, 1
	s_and_saveexec_b32 s1, s0
	s_cbranch_execz .LBB6_651
; %bb.650:                              ;   in Loop: Header=BB6_649 Depth=1
	global_load_b32 v0, v[8:9], off offset:20 glc
	s_waitcnt vmcnt(0)
	buffer_gl1_inv
	buffer_gl0_inv
	v_and_b32_e32 v0, 1, v0
.LBB6_651:                              ;   in Loop: Header=BB6_649 Depth=1
	s_or_b32 exec_lo, exec_lo, s1
	s_delay_alu instid0(VALU_DEP_1) | instskip(NEXT) | instid1(VALU_DEP_1)
	v_readfirstlane_b32 s1, v0
	s_cmp_eq_u32 s1, 0
	s_cbranch_scc1 .LBB6_648
; %bb.652:                              ;   in Loop: Header=BB6_649 Depth=1
	s_sleep 1
	s_cbranch_execnz .LBB6_649
.LBB6_653:
	global_load_b64 v[0:1], v[10:11], off
	s_and_saveexec_b32 s1, s0
	s_cbranch_execz .LBB6_657
; %bb.654:
	v_mov_b32_e32 v8, 0
	s_clause 0x2
	global_load_b64 v[4:5], v8, s[2:3] offset:40
	global_load_b64 v[9:10], v8, s[2:3] offset:24 glc
	global_load_b64 v[6:7], v8, s[2:3]
	s_waitcnt vmcnt(2)
	v_add_co_u32 v11, vcc_lo, v4, 1
	v_add_co_ci_u32_e32 v12, vcc_lo, 0, v5, vcc_lo
	s_delay_alu instid0(VALU_DEP_2) | instskip(NEXT) | instid1(VALU_DEP_2)
	v_add_co_u32 v2, vcc_lo, v11, s4
	v_add_co_ci_u32_e32 v3, vcc_lo, s5, v12, vcc_lo
	s_delay_alu instid0(VALU_DEP_1) | instskip(SKIP_1) | instid1(VALU_DEP_1)
	v_cmp_eq_u64_e32 vcc_lo, 0, v[2:3]
	v_dual_cndmask_b32 v3, v3, v12 :: v_dual_cndmask_b32 v2, v2, v11
	v_and_b32_e32 v5, v3, v5
	s_delay_alu instid0(VALU_DEP_2) | instskip(NEXT) | instid1(VALU_DEP_2)
	v_and_b32_e32 v4, v2, v4
	v_mul_lo_u32 v5, v5, 24
	s_delay_alu instid0(VALU_DEP_2) | instskip(SKIP_1) | instid1(VALU_DEP_2)
	v_mul_hi_u32 v11, v4, 24
	v_mul_lo_u32 v4, v4, 24
	v_add_nc_u32_e32 v5, v11, v5
	s_waitcnt vmcnt(0)
	s_delay_alu instid0(VALU_DEP_2) | instskip(SKIP_1) | instid1(VALU_DEP_3)
	v_add_co_u32 v6, vcc_lo, v6, v4
	v_mov_b32_e32 v4, v9
	v_add_co_ci_u32_e32 v7, vcc_lo, v7, v5, vcc_lo
	v_mov_b32_e32 v5, v10
	global_store_b64 v[6:7], v[9:10], off
	s_waitcnt_vscnt null, 0x0
	global_atomic_cmpswap_b64 v[4:5], v8, v[2:5], s[2:3] offset:24 glc
	s_waitcnt vmcnt(0)
	v_cmp_ne_u64_e32 vcc_lo, v[4:5], v[9:10]
	s_and_b32 exec_lo, exec_lo, vcc_lo
	s_cbranch_execz .LBB6_657
; %bb.655:
	s_mov_b32 s0, 0
.LBB6_656:                              ; =>This Inner Loop Header: Depth=1
	s_sleep 1
	global_store_b64 v[6:7], v[4:5], off
	s_waitcnt_vscnt null, 0x0
	global_atomic_cmpswap_b64 v[9:10], v8, v[2:5], s[2:3] offset:24 glc
	s_waitcnt vmcnt(0)
	v_cmp_eq_u64_e32 vcc_lo, v[9:10], v[4:5]
	v_dual_mov_b32 v4, v9 :: v_dual_mov_b32 v5, v10
	s_or_b32 s0, vcc_lo, s0
	s_delay_alu instid0(SALU_CYCLE_1)
	s_and_not1_b32 exec_lo, exec_lo, s0
	s_cbranch_execnz .LBB6_656
.LBB6_657:
	s_or_b32 exec_lo, exec_lo, s1
	s_getpc_b64 s[4:5]
	s_add_u32 s4, s4, .str.28@rel32@lo+4
	s_addc_u32 s5, s5, .str.28@rel32@hi+12
	s_delay_alu instid0(SALU_CYCLE_1)
	s_cmp_lg_u64 s[4:5], 0
	s_cbranch_scc0 .LBB6_1174
; %bb.658:
	s_waitcnt vmcnt(0)
	v_dual_mov_b32 v7, v1 :: v_dual_and_b32 v6, -3, v0
	v_dual_mov_b32 v3, 0 :: v_dual_mov_b32 v4, 2
	v_mov_b32_e32 v5, 1
	s_mov_b64 s[6:7], 35
	s_branch .LBB6_660
.LBB6_659:                              ;   in Loop: Header=BB6_660 Depth=1
	s_or_b32 exec_lo, exec_lo, s1
	s_sub_u32 s6, s6, s8
	s_subb_u32 s7, s7, s9
	s_add_u32 s4, s4, s8
	s_addc_u32 s5, s5, s9
	s_cmp_lg_u64 s[6:7], 0
	s_cbranch_scc0 .LBB6_1173
.LBB6_660:                              ; =>This Loop Header: Depth=1
                                        ;     Child Loop BB6_663 Depth 2
                                        ;     Child Loop BB6_668 Depth 2
                                        ;     Child Loop BB6_678 Depth 2
                                        ;     Child Loop BB6_686 Depth 2
                                        ;     Child Loop BB6_694 Depth 2
                                        ;     Child Loop BB6_702 Depth 2
                                        ;     Child Loop BB6_710 Depth 2
                                        ;     Child Loop BB6_718 Depth 2
                                        ;     Child Loop BB6_726 Depth 2
                                        ;     Child Loop BB6_733 Depth 2
                                        ;     Child Loop BB6_740 Depth 2
	v_cmp_lt_u64_e64 s0, s[6:7], 56
	v_cmp_gt_u64_e64 s1, s[6:7], 7
                                        ; implicit-def: $sgpr14
	s_delay_alu instid0(VALU_DEP_2) | instskip(SKIP_2) | instid1(VALU_DEP_1)
	s_and_b32 s0, s0, exec_lo
	s_cselect_b32 s9, s7, 0
	s_cselect_b32 s8, s6, 56
	s_and_b32 vcc_lo, exec_lo, s1
	s_mov_b32 s0, -1
	s_cbranch_vccnz .LBB6_670
; %bb.661:                              ;   in Loop: Header=BB6_660 Depth=1
	s_waitcnt vmcnt(0)
	v_mov_b32_e32 v8, 0
	v_mov_b32_e32 v9, 0
	s_cmp_eq_u64 s[6:7], 0
	s_mov_b64 s[0:1], 0
	s_cbranch_scc1 .LBB6_664
; %bb.662:                              ;   in Loop: Header=BB6_660 Depth=1
	v_mov_b32_e32 v8, 0
	v_mov_b32_e32 v9, 0
	s_lshl_b64 s[10:11], s[8:9], 3
	s_mov_b64 s[12:13], s[4:5]
.LBB6_663:                              ;   Parent Loop BB6_660 Depth=1
                                        ; =>  This Inner Loop Header: Depth=2
	global_load_u8 v2, v3, s[12:13]
	s_waitcnt vmcnt(0)
	v_and_b32_e32 v2, 0xffff, v2
	s_delay_alu instid0(VALU_DEP_1)
	v_lshlrev_b64 v[10:11], s0, v[2:3]
	s_add_u32 s0, s0, 8
	s_addc_u32 s1, s1, 0
	s_add_u32 s12, s12, 1
	s_addc_u32 s13, s13, 0
	s_cmp_lg_u32 s10, s0
	v_or_b32_e32 v8, v10, v8
	v_or_b32_e32 v9, v11, v9
	s_cbranch_scc1 .LBB6_663
.LBB6_664:                              ;   in Loop: Header=BB6_660 Depth=1
	s_mov_b32 s14, 0
	s_mov_b64 s[0:1], s[4:5]
	s_cbranch_execz .LBB6_671
.LBB6_665:                              ;   in Loop: Header=BB6_660 Depth=1
	s_cmp_gt_u32 s14, 7
	s_cbranch_scc1 .LBB6_672
.LBB6_666:                              ;   in Loop: Header=BB6_660 Depth=1
	v_mov_b32_e32 v10, 0
	v_mov_b32_e32 v11, 0
	s_cmp_eq_u32 s14, 0
	s_cbranch_scc1 .LBB6_669
; %bb.667:                              ;   in Loop: Header=BB6_660 Depth=1
	s_mov_b64 s[10:11], 0
	s_mov_b64 s[12:13], 0
.LBB6_668:                              ;   Parent Loop BB6_660 Depth=1
                                        ; =>  This Inner Loop Header: Depth=2
	s_delay_alu instid0(SALU_CYCLE_1)
	s_add_u32 vcc_lo, s0, s12
	s_addc_u32 vcc_hi, s1, s13
	s_add_u32 s12, s12, 1
	global_load_u8 v2, v3, vcc
	s_addc_u32 s13, s13, 0
	s_waitcnt vmcnt(0)
	v_and_b32_e32 v2, 0xffff, v2
	s_delay_alu instid0(VALU_DEP_1) | instskip(SKIP_3) | instid1(VALU_DEP_1)
	v_lshlrev_b64 v[12:13], s10, v[2:3]
	s_add_u32 s10, s10, 8
	s_addc_u32 s11, s11, 0
	s_cmp_lg_u32 s14, s12
	v_or_b32_e32 v10, v12, v10
	s_delay_alu instid0(VALU_DEP_2)
	v_or_b32_e32 v11, v13, v11
	s_cbranch_scc1 .LBB6_668
.LBB6_669:                              ;   in Loop: Header=BB6_660 Depth=1
	s_mov_b32 s10, 0
	s_mov_b32 s15, 0
	s_branch .LBB6_673
.LBB6_670:                              ;   in Loop: Header=BB6_660 Depth=1
	s_and_not1_b32 vcc_lo, exec_lo, s0
	s_mov_b64 s[0:1], s[4:5]
	s_cbranch_vccnz .LBB6_665
.LBB6_671:                              ;   in Loop: Header=BB6_660 Depth=1
	global_load_b64 v[8:9], v3, s[4:5]
	s_add_i32 s14, s8, -8
	s_add_u32 s0, s4, 8
	s_addc_u32 s1, s5, 0
	s_cmp_gt_u32 s14, 7
	s_cbranch_scc0 .LBB6_666
.LBB6_672:                              ;   in Loop: Header=BB6_660 Depth=1
	s_mov_b32 s10, -1
                                        ; implicit-def: $vgpr10_vgpr11
                                        ; implicit-def: $sgpr15
.LBB6_673:                              ;   in Loop: Header=BB6_660 Depth=1
	s_delay_alu instid0(SALU_CYCLE_1)
	s_and_not1_b32 vcc_lo, exec_lo, s10
	s_cbranch_vccnz .LBB6_675
; %bb.674:                              ;   in Loop: Header=BB6_660 Depth=1
	global_load_b64 v[10:11], v3, s[0:1]
	s_add_i32 s15, s14, -8
	s_add_u32 s0, s0, 8
	s_addc_u32 s1, s1, 0
.LBB6_675:                              ;   in Loop: Header=BB6_660 Depth=1
	s_cmp_gt_u32 s15, 7
	s_cbranch_scc1 .LBB6_680
; %bb.676:                              ;   in Loop: Header=BB6_660 Depth=1
	v_mov_b32_e32 v12, 0
	v_mov_b32_e32 v13, 0
	s_cmp_eq_u32 s15, 0
	s_cbranch_scc1 .LBB6_679
; %bb.677:                              ;   in Loop: Header=BB6_660 Depth=1
	s_mov_b64 s[10:11], 0
	s_mov_b64 s[12:13], 0
.LBB6_678:                              ;   Parent Loop BB6_660 Depth=1
                                        ; =>  This Inner Loop Header: Depth=2
	s_delay_alu instid0(SALU_CYCLE_1)
	s_add_u32 vcc_lo, s0, s12
	s_addc_u32 vcc_hi, s1, s13
	s_add_u32 s12, s12, 1
	global_load_u8 v2, v3, vcc
	s_addc_u32 s13, s13, 0
	s_waitcnt vmcnt(0)
	v_and_b32_e32 v2, 0xffff, v2
	s_delay_alu instid0(VALU_DEP_1) | instskip(SKIP_3) | instid1(VALU_DEP_1)
	v_lshlrev_b64 v[14:15], s10, v[2:3]
	s_add_u32 s10, s10, 8
	s_addc_u32 s11, s11, 0
	s_cmp_lg_u32 s15, s12
	v_or_b32_e32 v12, v14, v12
	s_delay_alu instid0(VALU_DEP_2)
	v_or_b32_e32 v13, v15, v13
	s_cbranch_scc1 .LBB6_678
.LBB6_679:                              ;   in Loop: Header=BB6_660 Depth=1
	s_mov_b32 s10, 0
	s_mov_b32 s14, 0
	s_branch .LBB6_681
.LBB6_680:                              ;   in Loop: Header=BB6_660 Depth=1
	s_mov_b32 s10, -1
                                        ; implicit-def: $sgpr14
.LBB6_681:                              ;   in Loop: Header=BB6_660 Depth=1
	s_delay_alu instid0(SALU_CYCLE_1)
	s_and_not1_b32 vcc_lo, exec_lo, s10
	s_cbranch_vccnz .LBB6_683
; %bb.682:                              ;   in Loop: Header=BB6_660 Depth=1
	global_load_b64 v[12:13], v3, s[0:1]
	s_add_i32 s14, s15, -8
	s_add_u32 s0, s0, 8
	s_addc_u32 s1, s1, 0
.LBB6_683:                              ;   in Loop: Header=BB6_660 Depth=1
	s_cmp_gt_u32 s14, 7
	s_cbranch_scc1 .LBB6_688
; %bb.684:                              ;   in Loop: Header=BB6_660 Depth=1
	v_mov_b32_e32 v14, 0
	v_mov_b32_e32 v15, 0
	s_cmp_eq_u32 s14, 0
	s_cbranch_scc1 .LBB6_687
; %bb.685:                              ;   in Loop: Header=BB6_660 Depth=1
	s_mov_b64 s[10:11], 0
	s_mov_b64 s[12:13], 0
.LBB6_686:                              ;   Parent Loop BB6_660 Depth=1
                                        ; =>  This Inner Loop Header: Depth=2
	s_delay_alu instid0(SALU_CYCLE_1)
	s_add_u32 vcc_lo, s0, s12
	s_addc_u32 vcc_hi, s1, s13
	s_add_u32 s12, s12, 1
	global_load_u8 v2, v3, vcc
	s_addc_u32 s13, s13, 0
	s_waitcnt vmcnt(0)
	v_and_b32_e32 v2, 0xffff, v2
	s_delay_alu instid0(VALU_DEP_1) | instskip(SKIP_3) | instid1(VALU_DEP_1)
	v_lshlrev_b64 v[16:17], s10, v[2:3]
	s_add_u32 s10, s10, 8
	s_addc_u32 s11, s11, 0
	s_cmp_lg_u32 s14, s12
	v_or_b32_e32 v14, v16, v14
	s_delay_alu instid0(VALU_DEP_2)
	v_or_b32_e32 v15, v17, v15
	s_cbranch_scc1 .LBB6_686
.LBB6_687:                              ;   in Loop: Header=BB6_660 Depth=1
	s_mov_b32 s10, 0
	s_mov_b32 s15, 0
	s_branch .LBB6_689
.LBB6_688:                              ;   in Loop: Header=BB6_660 Depth=1
	s_mov_b32 s10, -1
                                        ; implicit-def: $vgpr14_vgpr15
                                        ; implicit-def: $sgpr15
.LBB6_689:                              ;   in Loop: Header=BB6_660 Depth=1
	s_delay_alu instid0(SALU_CYCLE_1)
	s_and_not1_b32 vcc_lo, exec_lo, s10
	s_cbranch_vccnz .LBB6_691
; %bb.690:                              ;   in Loop: Header=BB6_660 Depth=1
	global_load_b64 v[14:15], v3, s[0:1]
	s_add_i32 s15, s14, -8
	s_add_u32 s0, s0, 8
	s_addc_u32 s1, s1, 0
.LBB6_691:                              ;   in Loop: Header=BB6_660 Depth=1
	s_cmp_gt_u32 s15, 7
	s_cbranch_scc1 .LBB6_696
; %bb.692:                              ;   in Loop: Header=BB6_660 Depth=1
	v_mov_b32_e32 v16, 0
	v_mov_b32_e32 v17, 0
	s_cmp_eq_u32 s15, 0
	s_cbranch_scc1 .LBB6_695
; %bb.693:                              ;   in Loop: Header=BB6_660 Depth=1
	s_mov_b64 s[10:11], 0
	s_mov_b64 s[12:13], 0
.LBB6_694:                              ;   Parent Loop BB6_660 Depth=1
                                        ; =>  This Inner Loop Header: Depth=2
	s_delay_alu instid0(SALU_CYCLE_1)
	s_add_u32 vcc_lo, s0, s12
	s_addc_u32 vcc_hi, s1, s13
	s_add_u32 s12, s12, 1
	global_load_u8 v2, v3, vcc
	s_addc_u32 s13, s13, 0
	s_waitcnt vmcnt(0)
	v_and_b32_e32 v2, 0xffff, v2
	s_delay_alu instid0(VALU_DEP_1) | instskip(SKIP_3) | instid1(VALU_DEP_1)
	v_lshlrev_b64 v[18:19], s10, v[2:3]
	s_add_u32 s10, s10, 8
	s_addc_u32 s11, s11, 0
	s_cmp_lg_u32 s15, s12
	v_or_b32_e32 v16, v18, v16
	s_delay_alu instid0(VALU_DEP_2)
	v_or_b32_e32 v17, v19, v17
	s_cbranch_scc1 .LBB6_694
.LBB6_695:                              ;   in Loop: Header=BB6_660 Depth=1
	s_mov_b32 s10, 0
	s_mov_b32 s14, 0
	s_branch .LBB6_697
.LBB6_696:                              ;   in Loop: Header=BB6_660 Depth=1
	s_mov_b32 s10, -1
                                        ; implicit-def: $sgpr14
.LBB6_697:                              ;   in Loop: Header=BB6_660 Depth=1
	s_delay_alu instid0(SALU_CYCLE_1)
	s_and_not1_b32 vcc_lo, exec_lo, s10
	s_cbranch_vccnz .LBB6_699
; %bb.698:                              ;   in Loop: Header=BB6_660 Depth=1
	global_load_b64 v[16:17], v3, s[0:1]
	s_add_i32 s14, s15, -8
	s_add_u32 s0, s0, 8
	s_addc_u32 s1, s1, 0
.LBB6_699:                              ;   in Loop: Header=BB6_660 Depth=1
	s_cmp_gt_u32 s14, 7
	s_cbranch_scc1 .LBB6_704
; %bb.700:                              ;   in Loop: Header=BB6_660 Depth=1
	v_mov_b32_e32 v18, 0
	v_mov_b32_e32 v19, 0
	s_cmp_eq_u32 s14, 0
	s_cbranch_scc1 .LBB6_703
; %bb.701:                              ;   in Loop: Header=BB6_660 Depth=1
	s_mov_b64 s[10:11], 0
	s_mov_b64 s[12:13], 0
.LBB6_702:                              ;   Parent Loop BB6_660 Depth=1
                                        ; =>  This Inner Loop Header: Depth=2
	s_delay_alu instid0(SALU_CYCLE_1)
	s_add_u32 vcc_lo, s0, s12
	s_addc_u32 vcc_hi, s1, s13
	s_add_u32 s12, s12, 1
	global_load_u8 v2, v3, vcc
	s_addc_u32 s13, s13, 0
	s_waitcnt vmcnt(0)
	v_and_b32_e32 v2, 0xffff, v2
	s_delay_alu instid0(VALU_DEP_1) | instskip(SKIP_3) | instid1(VALU_DEP_1)
	v_lshlrev_b64 v[20:21], s10, v[2:3]
	s_add_u32 s10, s10, 8
	s_addc_u32 s11, s11, 0
	s_cmp_lg_u32 s14, s12
	v_or_b32_e32 v18, v20, v18
	s_delay_alu instid0(VALU_DEP_2)
	v_or_b32_e32 v19, v21, v19
	s_cbranch_scc1 .LBB6_702
.LBB6_703:                              ;   in Loop: Header=BB6_660 Depth=1
	s_mov_b32 s10, 0
	s_mov_b32 s15, 0
	s_branch .LBB6_705
.LBB6_704:                              ;   in Loop: Header=BB6_660 Depth=1
	s_mov_b32 s10, -1
                                        ; implicit-def: $vgpr18_vgpr19
                                        ; implicit-def: $sgpr15
.LBB6_705:                              ;   in Loop: Header=BB6_660 Depth=1
	s_delay_alu instid0(SALU_CYCLE_1)
	s_and_not1_b32 vcc_lo, exec_lo, s10
	s_cbranch_vccnz .LBB6_707
; %bb.706:                              ;   in Loop: Header=BB6_660 Depth=1
	global_load_b64 v[18:19], v3, s[0:1]
	s_add_i32 s15, s14, -8
	s_add_u32 s0, s0, 8
	s_addc_u32 s1, s1, 0
.LBB6_707:                              ;   in Loop: Header=BB6_660 Depth=1
	s_cmp_gt_u32 s15, 7
	s_cbranch_scc1 .LBB6_712
; %bb.708:                              ;   in Loop: Header=BB6_660 Depth=1
	v_mov_b32_e32 v20, 0
	v_mov_b32_e32 v21, 0
	s_cmp_eq_u32 s15, 0
	s_cbranch_scc1 .LBB6_711
; %bb.709:                              ;   in Loop: Header=BB6_660 Depth=1
	s_mov_b64 s[10:11], 0
	s_mov_b64 s[12:13], s[0:1]
.LBB6_710:                              ;   Parent Loop BB6_660 Depth=1
                                        ; =>  This Inner Loop Header: Depth=2
	global_load_u8 v2, v3, s[12:13]
	s_add_i32 s15, s15, -1
	s_waitcnt vmcnt(0)
	v_and_b32_e32 v2, 0xffff, v2
	s_delay_alu instid0(VALU_DEP_1)
	v_lshlrev_b64 v[22:23], s10, v[2:3]
	s_add_u32 s10, s10, 8
	s_addc_u32 s11, s11, 0
	s_add_u32 s12, s12, 1
	s_addc_u32 s13, s13, 0
	s_cmp_lg_u32 s15, 0
	v_or_b32_e32 v20, v22, v20
	v_or_b32_e32 v21, v23, v21
	s_cbranch_scc1 .LBB6_710
.LBB6_711:                              ;   in Loop: Header=BB6_660 Depth=1
	s_mov_b32 s10, 0
	s_branch .LBB6_713
.LBB6_712:                              ;   in Loop: Header=BB6_660 Depth=1
	s_mov_b32 s10, -1
.LBB6_713:                              ;   in Loop: Header=BB6_660 Depth=1
	s_delay_alu instid0(SALU_CYCLE_1)
	s_and_not1_b32 vcc_lo, exec_lo, s10
	s_cbranch_vccnz .LBB6_715
; %bb.714:                              ;   in Loop: Header=BB6_660 Depth=1
	global_load_b64 v[20:21], v3, s[0:1]
.LBB6_715:                              ;   in Loop: Header=BB6_660 Depth=1
	v_readfirstlane_b32 s0, v28
	v_mov_b32_e32 v26, 0
	v_mov_b32_e32 v27, 0
	s_delay_alu instid0(VALU_DEP_3) | instskip(NEXT) | instid1(VALU_DEP_1)
	v_cmp_eq_u32_e64 s0, s0, v28
	s_and_saveexec_b32 s1, s0
	s_cbranch_execz .LBB6_721
; %bb.716:                              ;   in Loop: Header=BB6_660 Depth=1
	global_load_b64 v[24:25], v3, s[2:3] offset:24 glc
	s_waitcnt vmcnt(0)
	buffer_gl1_inv
	buffer_gl0_inv
	s_clause 0x1
	global_load_b64 v[22:23], v3, s[2:3] offset:40
	global_load_b64 v[26:27], v3, s[2:3]
	s_mov_b32 s10, exec_lo
	s_waitcnt vmcnt(1)
	v_and_b32_e32 v2, v23, v25
	v_and_b32_e32 v22, v22, v24
	s_delay_alu instid0(VALU_DEP_2) | instskip(NEXT) | instid1(VALU_DEP_2)
	v_mul_lo_u32 v2, v2, 24
	v_mul_hi_u32 v23, v22, 24
	v_mul_lo_u32 v22, v22, 24
	s_delay_alu instid0(VALU_DEP_2) | instskip(SKIP_1) | instid1(VALU_DEP_2)
	v_add_nc_u32_e32 v2, v23, v2
	s_waitcnt vmcnt(0)
	v_add_co_u32 v22, vcc_lo, v26, v22
	s_delay_alu instid0(VALU_DEP_2)
	v_add_co_ci_u32_e32 v23, vcc_lo, v27, v2, vcc_lo
	global_load_b64 v[22:23], v[22:23], off glc
	s_waitcnt vmcnt(0)
	global_atomic_cmpswap_b64 v[26:27], v3, v[22:25], s[2:3] offset:24 glc
	s_waitcnt vmcnt(0)
	buffer_gl1_inv
	buffer_gl0_inv
	v_cmpx_ne_u64_e64 v[26:27], v[24:25]
	s_cbranch_execz .LBB6_720
; %bb.717:                              ;   in Loop: Header=BB6_660 Depth=1
	s_mov_b32 s11, 0
.LBB6_718:                              ;   Parent Loop BB6_660 Depth=1
                                        ; =>  This Inner Loop Header: Depth=2
	s_sleep 1
	s_clause 0x1
	global_load_b64 v[22:23], v3, s[2:3] offset:40
	global_load_b64 v[30:31], v3, s[2:3]
	v_dual_mov_b32 v24, v26 :: v_dual_mov_b32 v25, v27
	s_waitcnt vmcnt(1)
	s_delay_alu instid0(VALU_DEP_1) | instskip(SKIP_1) | instid1(VALU_DEP_1)
	v_and_b32_e32 v2, v22, v24
	s_waitcnt vmcnt(0)
	v_mad_u64_u32 v[26:27], null, v2, 24, v[30:31]
	v_and_b32_e32 v30, v23, v25
	s_delay_alu instid0(VALU_DEP_2) | instskip(NEXT) | instid1(VALU_DEP_1)
	v_mov_b32_e32 v2, v27
	v_mad_u64_u32 v[22:23], null, v30, 24, v[2:3]
	s_delay_alu instid0(VALU_DEP_1)
	v_mov_b32_e32 v27, v22
	global_load_b64 v[22:23], v[26:27], off glc
	s_waitcnt vmcnt(0)
	global_atomic_cmpswap_b64 v[26:27], v3, v[22:25], s[2:3] offset:24 glc
	s_waitcnt vmcnt(0)
	buffer_gl1_inv
	buffer_gl0_inv
	v_cmp_eq_u64_e32 vcc_lo, v[26:27], v[24:25]
	s_or_b32 s11, vcc_lo, s11
	s_delay_alu instid0(SALU_CYCLE_1)
	s_and_not1_b32 exec_lo, exec_lo, s11
	s_cbranch_execnz .LBB6_718
; %bb.719:                              ;   in Loop: Header=BB6_660 Depth=1
	s_or_b32 exec_lo, exec_lo, s11
.LBB6_720:                              ;   in Loop: Header=BB6_660 Depth=1
	s_delay_alu instid0(SALU_CYCLE_1)
	s_or_b32 exec_lo, exec_lo, s10
.LBB6_721:                              ;   in Loop: Header=BB6_660 Depth=1
	s_delay_alu instid0(SALU_CYCLE_1)
	s_or_b32 exec_lo, exec_lo, s1
	s_clause 0x1
	global_load_b64 v[30:31], v3, s[2:3] offset:40
	global_load_b128 v[22:25], v3, s[2:3]
	v_readfirstlane_b32 s10, v26
	v_readfirstlane_b32 s11, v27
	s_mov_b32 s1, exec_lo
	s_waitcnt vmcnt(1)
	v_readfirstlane_b32 s12, v30
	v_readfirstlane_b32 s13, v31
	s_delay_alu instid0(VALU_DEP_1) | instskip(NEXT) | instid1(SALU_CYCLE_1)
	s_and_b64 s[12:13], s[10:11], s[12:13]
	s_mul_i32 s14, s13, 24
	s_mul_hi_u32 s15, s12, 24
	s_mul_i32 s16, s12, 24
	s_add_i32 s15, s15, s14
	s_waitcnt vmcnt(0)
	v_add_co_u32 v26, vcc_lo, v22, s16
	v_add_co_ci_u32_e32 v27, vcc_lo, s15, v23, vcc_lo
	s_and_saveexec_b32 s14, s0
	s_cbranch_execz .LBB6_723
; %bb.722:                              ;   in Loop: Header=BB6_660 Depth=1
	v_mov_b32_e32 v2, s1
	global_store_b128 v[26:27], v[2:5], off offset:8
.LBB6_723:                              ;   in Loop: Header=BB6_660 Depth=1
	s_or_b32 exec_lo, exec_lo, s14
	s_lshl_b64 s[12:13], s[12:13], 12
	v_or_b32_e32 v2, 2, v6
	v_add_co_u32 v24, vcc_lo, v24, s12
	v_add_co_ci_u32_e32 v25, vcc_lo, s13, v25, vcc_lo
	v_cmp_gt_u64_e64 vcc_lo, s[6:7], 56
	s_lshl_b32 s1, s8, 2
	s_delay_alu instid0(VALU_DEP_3) | instskip(SKIP_4) | instid1(VALU_DEP_1)
	v_readfirstlane_b32 s12, v24
	s_add_i32 s1, s1, 28
	v_readfirstlane_b32 s13, v25
	s_and_b32 s1, s1, 0x1e0
	v_cndmask_b32_e32 v2, v2, v6, vcc_lo
	v_and_or_b32 v6, 0xffffff1f, v2, s1
	s_clause 0x3
	global_store_b128 v29, v[6:9], s[12:13]
	global_store_b128 v29, v[10:13], s[12:13] offset:16
	global_store_b128 v29, v[14:17], s[12:13] offset:32
	;; [unrolled: 1-line block ×3, first 2 shown]
	s_and_saveexec_b32 s1, s0
	s_cbranch_execz .LBB6_731
; %bb.724:                              ;   in Loop: Header=BB6_660 Depth=1
	s_clause 0x1
	global_load_b64 v[14:15], v3, s[2:3] offset:32 glc
	global_load_b64 v[6:7], v3, s[2:3] offset:40
	v_dual_mov_b32 v12, s10 :: v_dual_mov_b32 v13, s11
	s_waitcnt vmcnt(0)
	v_readfirstlane_b32 s12, v6
	v_readfirstlane_b32 s13, v7
	s_delay_alu instid0(VALU_DEP_1) | instskip(NEXT) | instid1(SALU_CYCLE_1)
	s_and_b64 s[12:13], s[12:13], s[10:11]
	s_mul_i32 s13, s13, 24
	s_mul_hi_u32 s14, s12, 24
	s_mul_i32 s12, s12, 24
	s_add_i32 s14, s14, s13
	v_add_co_u32 v10, vcc_lo, v22, s12
	v_add_co_ci_u32_e32 v11, vcc_lo, s14, v23, vcc_lo
	s_mov_b32 s12, exec_lo
	global_store_b64 v[10:11], v[14:15], off
	s_waitcnt_vscnt null, 0x0
	global_atomic_cmpswap_b64 v[8:9], v3, v[12:15], s[2:3] offset:32 glc
	s_waitcnt vmcnt(0)
	v_cmpx_ne_u64_e64 v[8:9], v[14:15]
	s_cbranch_execz .LBB6_727
; %bb.725:                              ;   in Loop: Header=BB6_660 Depth=1
	s_mov_b32 s13, 0
.LBB6_726:                              ;   Parent Loop BB6_660 Depth=1
                                        ; =>  This Inner Loop Header: Depth=2
	v_dual_mov_b32 v6, s10 :: v_dual_mov_b32 v7, s11
	s_sleep 1
	global_store_b64 v[10:11], v[8:9], off
	s_waitcnt_vscnt null, 0x0
	global_atomic_cmpswap_b64 v[6:7], v3, v[6:9], s[2:3] offset:32 glc
	s_waitcnt vmcnt(0)
	v_cmp_eq_u64_e32 vcc_lo, v[6:7], v[8:9]
	v_dual_mov_b32 v9, v7 :: v_dual_mov_b32 v8, v6
	s_or_b32 s13, vcc_lo, s13
	s_delay_alu instid0(SALU_CYCLE_1)
	s_and_not1_b32 exec_lo, exec_lo, s13
	s_cbranch_execnz .LBB6_726
.LBB6_727:                              ;   in Loop: Header=BB6_660 Depth=1
	s_or_b32 exec_lo, exec_lo, s12
	global_load_b64 v[6:7], v3, s[2:3] offset:16
	s_mov_b32 s13, exec_lo
	s_mov_b32 s12, exec_lo
	v_mbcnt_lo_u32_b32 v2, s13, 0
	s_delay_alu instid0(VALU_DEP_1)
	v_cmpx_eq_u32_e32 0, v2
	s_cbranch_execz .LBB6_729
; %bb.728:                              ;   in Loop: Header=BB6_660 Depth=1
	s_bcnt1_i32_b32 s13, s13
	s_delay_alu instid0(SALU_CYCLE_1)
	v_mov_b32_e32 v2, s13
	s_waitcnt vmcnt(0)
	global_atomic_add_u64 v[6:7], v[2:3], off offset:8
.LBB6_729:                              ;   in Loop: Header=BB6_660 Depth=1
	s_or_b32 exec_lo, exec_lo, s12
	s_waitcnt vmcnt(0)
	global_load_b64 v[8:9], v[6:7], off offset:16
	s_waitcnt vmcnt(0)
	v_cmp_eq_u64_e32 vcc_lo, 0, v[8:9]
	s_cbranch_vccnz .LBB6_731
; %bb.730:                              ;   in Loop: Header=BB6_660 Depth=1
	global_load_b32 v2, v[6:7], off offset:24
	s_waitcnt vmcnt(0)
	v_and_b32_e32 v6, 0xffffff, v2
	s_waitcnt_vscnt null, 0x0
	global_store_b64 v[8:9], v[2:3], off
	v_readfirstlane_b32 m0, v6
	s_sendmsg sendmsg(MSG_INTERRUPT)
.LBB6_731:                              ;   in Loop: Header=BB6_660 Depth=1
	s_or_b32 exec_lo, exec_lo, s1
	v_add_co_u32 v6, vcc_lo, v24, v29
	v_add_co_ci_u32_e32 v7, vcc_lo, 0, v25, vcc_lo
	s_branch .LBB6_733
.LBB6_732:                              ;   in Loop: Header=BB6_660 Depth=1
	s_branch .LBB6_737
.LBB6_733:                              ;   Parent Loop BB6_660 Depth=1
                                        ; =>  This Inner Loop Header: Depth=2
	v_mov_b32_e32 v2, 1
	s_and_saveexec_b32 s1, s0
	s_cbranch_execz .LBB6_735
; %bb.734:                              ;   in Loop: Header=BB6_733 Depth=2
	global_load_b32 v2, v[26:27], off offset:20 glc
	s_waitcnt vmcnt(0)
	buffer_gl1_inv
	buffer_gl0_inv
	v_and_b32_e32 v2, 1, v2
.LBB6_735:                              ;   in Loop: Header=BB6_733 Depth=2
	s_or_b32 exec_lo, exec_lo, s1
	s_delay_alu instid0(VALU_DEP_1) | instskip(NEXT) | instid1(VALU_DEP_1)
	v_readfirstlane_b32 s1, v2
	s_cmp_eq_u32 s1, 0
	s_cbranch_scc1 .LBB6_732
; %bb.736:                              ;   in Loop: Header=BB6_733 Depth=2
	s_sleep 1
	s_cbranch_execnz .LBB6_733
.LBB6_737:                              ;   in Loop: Header=BB6_660 Depth=1
	global_load_b128 v[6:9], v[6:7], off
	s_and_saveexec_b32 s1, s0
	s_cbranch_execz .LBB6_659
; %bb.738:                              ;   in Loop: Header=BB6_660 Depth=1
	s_clause 0x2
	global_load_b64 v[10:11], v3, s[2:3] offset:40
	global_load_b64 v[14:15], v3, s[2:3] offset:24 glc
	global_load_b64 v[12:13], v3, s[2:3]
	s_waitcnt vmcnt(2)
	v_add_co_u32 v2, vcc_lo, v10, 1
	v_add_co_ci_u32_e32 v16, vcc_lo, 0, v11, vcc_lo
	s_delay_alu instid0(VALU_DEP_2) | instskip(NEXT) | instid1(VALU_DEP_2)
	v_add_co_u32 v8, vcc_lo, v2, s10
	v_add_co_ci_u32_e32 v9, vcc_lo, s11, v16, vcc_lo
	s_delay_alu instid0(VALU_DEP_1) | instskip(SKIP_1) | instid1(VALU_DEP_1)
	v_cmp_eq_u64_e32 vcc_lo, 0, v[8:9]
	v_dual_cndmask_b32 v9, v9, v16 :: v_dual_cndmask_b32 v8, v8, v2
	v_and_b32_e32 v2, v9, v11
	s_delay_alu instid0(VALU_DEP_2) | instskip(NEXT) | instid1(VALU_DEP_2)
	v_and_b32_e32 v10, v8, v10
	v_mul_lo_u32 v2, v2, 24
	s_delay_alu instid0(VALU_DEP_2) | instskip(SKIP_1) | instid1(VALU_DEP_2)
	v_mul_hi_u32 v11, v10, 24
	v_mul_lo_u32 v10, v10, 24
	v_add_nc_u32_e32 v2, v11, v2
	s_waitcnt vmcnt(1)
	v_mov_b32_e32 v11, v15
	s_waitcnt vmcnt(0)
	s_delay_alu instid0(VALU_DEP_3)
	v_add_co_u32 v12, vcc_lo, v12, v10
	v_mov_b32_e32 v10, v14
	v_add_co_ci_u32_e32 v13, vcc_lo, v13, v2, vcc_lo
	global_store_b64 v[12:13], v[14:15], off
	s_waitcnt_vscnt null, 0x0
	global_atomic_cmpswap_b64 v[10:11], v3, v[8:11], s[2:3] offset:24 glc
	s_waitcnt vmcnt(0)
	v_cmp_ne_u64_e32 vcc_lo, v[10:11], v[14:15]
	s_and_b32 exec_lo, exec_lo, vcc_lo
	s_cbranch_execz .LBB6_659
; %bb.739:                              ;   in Loop: Header=BB6_660 Depth=1
	s_mov_b32 s0, 0
.LBB6_740:                              ;   Parent Loop BB6_660 Depth=1
                                        ; =>  This Inner Loop Header: Depth=2
	s_sleep 1
	global_store_b64 v[12:13], v[10:11], off
	s_waitcnt_vscnt null, 0x0
	global_atomic_cmpswap_b64 v[14:15], v3, v[8:11], s[2:3] offset:24 glc
	s_waitcnt vmcnt(0)
	v_cmp_eq_u64_e32 vcc_lo, v[14:15], v[10:11]
	v_dual_mov_b32 v10, v14 :: v_dual_mov_b32 v11, v15
	s_or_b32 s0, vcc_lo, s0
	s_delay_alu instid0(SALU_CYCLE_1)
	s_and_not1_b32 exec_lo, exec_lo, s0
	s_cbranch_execnz .LBB6_740
	s_branch .LBB6_659
.LBB6_741:
	s_or_b32 exec_lo, exec_lo, s40
	s_and_saveexec_b32 s0, s51
	s_delay_alu instid0(SALU_CYCLE_1)
	s_xor_b32 s38, exec_lo, s0
	s_cbranch_execz .LBB6_743
.LBB6_742:
	s_getpc_b64 s[0:1]
	s_add_u32 s0, s0, .str.39@rel32@lo+4
	s_addc_u32 s1, s1, .str.39@rel32@hi+12
	s_getpc_b64 s[2:3]
	s_add_u32 s2, s2, .str.31@rel32@lo+4
	s_addc_u32 s3, s3, .str.31@rel32@hi+12
	s_getpc_b64 s[4:5]
	s_add_u32 s4, s4, __PRETTY_FUNCTION__._ZN3sop17sopDivideInternalEPNS_3SopES1_S1_S1_P7VecsMemIjLi8192EE@rel32@lo+4
	s_addc_u32 s5, s5, __PRETTY_FUNCTION__._ZN3sop17sopDivideInternalEPNS_3SopES1_S1_S1_P7VecsMemIjLi8192EE@rel32@hi+12
	v_dual_mov_b32 v0, s0 :: v_dual_mov_b32 v1, s1
	v_dual_mov_b32 v2, s2 :: v_dual_mov_b32 v3, s3
	;; [unrolled: 1-line block ×3, first 2 shown]
	v_mov_b32_e32 v6, s5
	s_mov_b64 s[8:9], s[44:45]
	s_getpc_b64 s[6:7]
	s_add_u32 s6, s6, __assert_fail@rel32@lo+4
	s_addc_u32 s7, s7, __assert_fail@rel32@hi+12
	s_delay_alu instid0(SALU_CYCLE_1)
	s_swappc_b64 s[30:31], s[6:7]
	s_or_b32 s27, s27, exec_lo
                                        ; implicit-def: $vgpr40
.LBB6_743:
	s_or_b32 exec_lo, exec_lo, s38
	s_delay_alu instid0(SALU_CYCLE_1) | instskip(SKIP_1) | instid1(SALU_CYCLE_1)
	s_and_not1_b32 s0, s17, exec_lo
	s_and_b32 s1, s27, exec_lo
	s_or_b32 s17, s0, s1
	s_and_b32 s1, s26, exec_lo
.LBB6_744:
	s_or_b32 exec_lo, exec_lo, s39
	s_delay_alu instid0(SALU_CYCLE_1)
	s_and_not1_b32 s0, s20, exec_lo
	s_and_b32 s2, s17, exec_lo
	s_and_b32 s17, s1, exec_lo
	s_or_b32 s26, s0, s2
.LBB6_745:
	s_and_not1_saveexec_b32 s27, s37
	s_cbranch_execz .LBB6_747
; %bb.746:
	s_getpc_b64 s[0:1]
	s_add_u32 s0, s0, .str.38@rel32@lo+4
	s_addc_u32 s1, s1, .str.38@rel32@hi+12
	s_getpc_b64 s[2:3]
	s_add_u32 s2, s2, .str.31@rel32@lo+4
	s_addc_u32 s3, s3, .str.31@rel32@hi+12
	s_getpc_b64 s[4:5]
	s_add_u32 s4, s4, __PRETTY_FUNCTION__._ZN3sop17sopDivideInternalEPNS_3SopES1_S1_S1_P7VecsMemIjLi8192EE@rel32@lo+4
	s_addc_u32 s5, s5, __PRETTY_FUNCTION__._ZN3sop17sopDivideInternalEPNS_3SopES1_S1_S1_P7VecsMemIjLi8192EE@rel32@hi+12
	v_dual_mov_b32 v0, s0 :: v_dual_mov_b32 v1, s1
	v_dual_mov_b32 v2, s2 :: v_dual_mov_b32 v3, s3
	;; [unrolled: 1-line block ×3, first 2 shown]
	v_mov_b32_e32 v6, s5
	s_mov_b64 s[8:9], s[44:45]
	s_getpc_b64 s[6:7]
	s_add_u32 s6, s6, __assert_fail@rel32@lo+4
	s_addc_u32 s7, s7, __assert_fail@rel32@hi+12
	s_delay_alu instid0(SALU_CYCLE_1)
	s_swappc_b64 s[30:31], s[6:7]
	s_or_b32 s26, s26, exec_lo
                                        ; implicit-def: $vgpr40
.LBB6_747:
	s_or_b32 exec_lo, exec_lo, s27
	s_delay_alu instid0(SALU_CYCLE_1)
	s_and_not1_b32 s0, s20, exec_lo
	s_and_b32 s1, s26, exec_lo
	s_and_b32 s41, s17, exec_lo
	s_or_b32 s26, s0, s1
                                        ; implicit-def: $vgpr55
                                        ; implicit-def: $vgpr67
                                        ; implicit-def: $vgpr53_vgpr54
                                        ; implicit-def: $vgpr46
                                        ; implicit-def: $vgpr62_vgpr63
                                        ; implicit-def: $vgpr58_vgpr59
                                        ; implicit-def: $vgpr44_vgpr45
                                        ; implicit-def: $vgpr41
                                        ; implicit-def: $vgpr60_vgpr61
.LBB6_748:
	s_or_saveexec_b32 s27, s49
	s_mov_b32 s36, 0
	s_xor_b32 exec_lo, exec_lo, s27
	s_cbranch_execz .LBB6_1447
; %bb.749:
	flat_load_b32 v3, v[53:54]
	s_waitcnt lgkmcnt(0)
	v_cmp_lt_i32_e32 vcc_lo, 0, v46
	v_mov_b32_e32 v4, -1
	v_mov_b32_e32 v2, -1
	s_mov_b32 s2, 0
	s_mov_b32 s3, 0
	s_set_inst_prefetch_distance 0x1
	s_branch .LBB6_752
.LBB6_750:                              ;   in Loop: Header=BB6_752 Depth=1
	s_or_b32 exec_lo, exec_lo, s5
	v_max_i32_e32 v0, 1, v4
	s_delay_alu instid0(VALU_DEP_1) | instskip(NEXT) | instid1(VALU_DEP_1)
	v_cmp_lt_i32_e64 s0, v0, v5
	v_cndmask_b32_e64 v2, v2, s3, s0
	v_cndmask_b32_e64 v4, v4, v5, s0
.LBB6_751:                              ;   in Loop: Header=BB6_752 Depth=1
	s_or_b32 exec_lo, exec_lo, s4
	s_add_i32 s3, s3, 1
	s_delay_alu instid0(SALU_CYCLE_1) | instskip(NEXT) | instid1(VALU_DEP_1)
	v_cmp_eq_u32_e64 s0, s3, v41
	s_or_b32 s2, s0, s2
	s_delay_alu instid0(SALU_CYCLE_1)
	s_and_not1_b32 exec_lo, exec_lo, s2
	s_cbranch_execz .LBB6_757
.LBB6_752:                              ; =>This Loop Header: Depth=1
                                        ;     Child Loop BB6_755 Depth 2
	s_waitcnt vmcnt(0)
	v_lshrrev_b32_e32 v0, s3, v3
	s_mov_b32 s4, exec_lo
	s_delay_alu instid0(VALU_DEP_1) | instskip(NEXT) | instid1(VALU_DEP_1)
	v_and_b32_e32 v0, 1, v0
	v_cmpx_eq_u32_e32 1, v0
	s_cbranch_execz .LBB6_751
; %bb.753:                              ;   in Loop: Header=BB6_752 Depth=1
	v_mov_b32_e32 v5, 0
	s_and_saveexec_b32 s5, vcc_lo
	s_cbranch_execz .LBB6_750
; %bb.754:                              ;   in Loop: Header=BB6_752 Depth=1
	v_dual_mov_b32 v5, 0 :: v_dual_mov_b32 v0, v62
	v_dual_mov_b32 v1, v63 :: v_dual_mov_b32 v6, v46
	s_mov_b32 s6, 0
.LBB6_755:                              ;   Parent Loop BB6_752 Depth=1
                                        ; =>  This Inner Loop Header: Depth=2
	flat_load_b32 v7, v[0:1]
	v_add_nc_u32_e32 v6, -1, v6
	v_add_co_u32 v0, s0, v0, 4
	s_delay_alu instid0(VALU_DEP_1) | instskip(NEXT) | instid1(VALU_DEP_3)
	v_add_co_ci_u32_e64 v1, s0, 0, v1, s0
	v_cmp_eq_u32_e64 s1, 0, v6
	s_delay_alu instid0(VALU_DEP_1) | instskip(SKIP_2) | instid1(VALU_DEP_1)
	s_or_b32 s6, s1, s6
	s_waitcnt vmcnt(0) lgkmcnt(0)
	v_bfe_u32 v7, v7, s3, 1
	v_add_nc_u32_e32 v5, v7, v5
	s_and_not1_b32 exec_lo, exec_lo, s6
	s_cbranch_execnz .LBB6_755
; %bb.756:                              ;   in Loop: Header=BB6_752 Depth=1
	s_or_b32 exec_lo, exec_lo, s6
	s_branch .LBB6_750
.LBB6_757:
	s_set_inst_prefetch_distance 0x2
	s_or_b32 exec_lo, exec_lo, s2
	flat_load_b32 v0, v[58:59]
	s_mov_b32 s0, 0
	s_mov_b32 s1, -1
	s_mov_b32 s2, s41
	s_mov_b32 s3, s26
	s_mov_b32 s48, exec_lo
                                        ; implicit-def: $vgpr40
	s_waitcnt vmcnt(0) lgkmcnt(0)
	v_cmpx_gt_i32_e32 0x2000, v0
	s_cbranch_execz .LBB6_1446
; %bb.758:
	v_ashrrev_i32_e32 v1, 31, v0
	v_lshlrev_b32_e64 v69, v2, 1
	v_mov_b32_e32 v64, 0
	s_mov_b32 s49, s26
	v_mov_b32_e32 v65, 0
	v_lshlrev_b64 v[3:4], 2, v[0:1]
	v_add_nc_u32_e32 v0, 1, v0
	s_delay_alu instid0(VALU_DEP_2) | instskip(NEXT) | instid1(VALU_DEP_3)
	v_add_co_u32 v53, vcc_lo, v55, v3
	v_add_co_ci_u32_e32 v54, vcc_lo, v67, v4, vcc_lo
	s_clause 0x1
	flat_store_b32 v[58:59], v0
	flat_store_b32 v[53:54], v69
	flat_load_b32 v66, v[60:61] offset:4
	v_mov_b32_e32 v0, 0
	scratch_store_b32 off, v0, s33 offset:100
	s_waitcnt vmcnt(0) lgkmcnt(0)
	v_cmp_lt_i32_e64 s17, 0, v66
	s_delay_alu instid0(VALU_DEP_1)
	s_and_saveexec_b32 s35, s17
	s_cbranch_execz .LBB6_904
; %bb.759:
	flat_load_b32 v0, v[58:59]
	v_mov_b32_e32 v64, 0
	s_mov_b32 s36, 0
	s_mov_b32 s0, exec_lo
	s_waitcnt vmcnt(0) lgkmcnt(0)
	v_dual_mov_b32 v65, 0 :: v_dual_add_nc_u32 v0, v0, v66
	s_delay_alu instid0(VALU_DEP_1)
	v_cmpx_gt_i32_e32 0x2001, v0
	s_xor_b32 s0, exec_lo, s0
	s_cbranch_execz .LBB6_761
; %bb.760:
	v_ashrrev_i32_e32 v1, 31, v0
	v_mov_b32_e32 v67, 0
	s_mov_b32 s36, exec_lo
	flat_store_b32 v[58:59], v0
	v_lshlrev_b64 v[1:2], 2, v[0:1]
	v_lshlrev_b64 v[3:4], 2, v[66:67]
	s_delay_alu instid0(VALU_DEP_2) | instskip(NEXT) | instid1(VALU_DEP_3)
	v_add_co_u32 v1, vcc_lo, v58, v1
	v_add_co_ci_u32_e32 v2, vcc_lo, v59, v2, vcc_lo
	s_delay_alu instid0(VALU_DEP_2) | instskip(NEXT) | instid1(VALU_DEP_2)
	v_sub_co_u32 v1, vcc_lo, v1, v3
	v_sub_co_ci_u32_e32 v2, vcc_lo, v2, v4, vcc_lo
	s_delay_alu instid0(VALU_DEP_2) | instskip(NEXT) | instid1(VALU_DEP_2)
	v_add_co_u32 v64, vcc_lo, v1, 4
	v_add_co_ci_u32_e32 v65, vcc_lo, 0, v2, vcc_lo
.LBB6_761:
	s_or_saveexec_b32 s37, s0
	s_mov_b32 s0, s26
	s_xor_b32 exec_lo, exec_lo, s37
	s_cbranch_execz .LBB6_903
; %bb.762:
	s_load_b64 s[2:3], s[44:45], 0x50
	v_mbcnt_lo_u32_b32 v29, -1, 0
	v_mov_b32_e32 v6, 0
	v_mov_b32_e32 v7, 0
	s_delay_alu instid0(VALU_DEP_3) | instskip(NEXT) | instid1(VALU_DEP_1)
	v_readfirstlane_b32 s0, v29
	v_cmp_eq_u32_e64 s0, s0, v29
	s_delay_alu instid0(VALU_DEP_1)
	s_and_saveexec_b32 s1, s0
	s_cbranch_execz .LBB6_768
; %bb.763:
	v_mov_b32_e32 v0, 0
	s_mov_b32 s4, exec_lo
	s_waitcnt lgkmcnt(0)
	global_load_b64 v[3:4], v0, s[2:3] offset:24 glc
	s_waitcnt vmcnt(0)
	buffer_gl1_inv
	buffer_gl0_inv
	s_clause 0x1
	global_load_b64 v[1:2], v0, s[2:3] offset:40
	global_load_b64 v[5:6], v0, s[2:3]
	s_waitcnt vmcnt(1)
	v_and_b32_e32 v1, v1, v3
	v_and_b32_e32 v2, v2, v4
	s_delay_alu instid0(VALU_DEP_2) | instskip(NEXT) | instid1(VALU_DEP_2)
	v_mul_hi_u32 v7, v1, 24
	v_mul_lo_u32 v2, v2, 24
	v_mul_lo_u32 v1, v1, 24
	s_delay_alu instid0(VALU_DEP_2) | instskip(SKIP_1) | instid1(VALU_DEP_2)
	v_add_nc_u32_e32 v2, v7, v2
	s_waitcnt vmcnt(0)
	v_add_co_u32 v1, vcc_lo, v5, v1
	s_delay_alu instid0(VALU_DEP_2)
	v_add_co_ci_u32_e32 v2, vcc_lo, v6, v2, vcc_lo
	global_load_b64 v[1:2], v[1:2], off glc
	s_waitcnt vmcnt(0)
	global_atomic_cmpswap_b64 v[6:7], v0, v[1:4], s[2:3] offset:24 glc
	s_waitcnt vmcnt(0)
	buffer_gl1_inv
	buffer_gl0_inv
	v_cmpx_ne_u64_e64 v[6:7], v[3:4]
	s_cbranch_execz .LBB6_767
; %bb.764:
	s_mov_b32 s5, 0
.LBB6_765:                              ; =>This Inner Loop Header: Depth=1
	s_sleep 1
	s_clause 0x1
	global_load_b64 v[1:2], v0, s[2:3] offset:40
	global_load_b64 v[8:9], v0, s[2:3]
	v_dual_mov_b32 v3, v6 :: v_dual_mov_b32 v4, v7
	s_waitcnt vmcnt(1)
	s_delay_alu instid0(VALU_DEP_1) | instskip(NEXT) | instid1(VALU_DEP_2)
	v_and_b32_e32 v1, v1, v3
	v_and_b32_e32 v2, v2, v4
	s_waitcnt vmcnt(0)
	s_delay_alu instid0(VALU_DEP_2) | instskip(NEXT) | instid1(VALU_DEP_1)
	v_mad_u64_u32 v[5:6], null, v1, 24, v[8:9]
	v_mov_b32_e32 v1, v6
	s_delay_alu instid0(VALU_DEP_1)
	v_mad_u64_u32 v[6:7], null, v2, 24, v[1:2]
	global_load_b64 v[1:2], v[5:6], off glc
	s_waitcnt vmcnt(0)
	global_atomic_cmpswap_b64 v[6:7], v0, v[1:4], s[2:3] offset:24 glc
	s_waitcnt vmcnt(0)
	buffer_gl1_inv
	buffer_gl0_inv
	v_cmp_eq_u64_e32 vcc_lo, v[6:7], v[3:4]
	s_or_b32 s5, vcc_lo, s5
	s_delay_alu instid0(SALU_CYCLE_1)
	s_and_not1_b32 exec_lo, exec_lo, s5
	s_cbranch_execnz .LBB6_765
; %bb.766:
	s_or_b32 exec_lo, exec_lo, s5
.LBB6_767:
	s_delay_alu instid0(SALU_CYCLE_1)
	s_or_b32 exec_lo, exec_lo, s4
.LBB6_768:
	s_delay_alu instid0(SALU_CYCLE_1)
	s_or_b32 exec_lo, exec_lo, s1
	v_mov_b32_e32 v5, 0
	v_readfirstlane_b32 s4, v6
	v_readfirstlane_b32 s5, v7
	s_mov_b32 s1, exec_lo
	s_waitcnt lgkmcnt(0)
	s_clause 0x1
	global_load_b64 v[8:9], v5, s[2:3] offset:40
	global_load_b128 v[0:3], v5, s[2:3]
	s_waitcnt vmcnt(1)
	v_readfirstlane_b32 s6, v8
	v_readfirstlane_b32 s7, v9
	s_delay_alu instid0(VALU_DEP_1) | instskip(NEXT) | instid1(SALU_CYCLE_1)
	s_and_b64 s[6:7], s[4:5], s[6:7]
	s_mul_i32 s8, s7, 24
	s_mul_hi_u32 s9, s6, 24
	s_mul_i32 s10, s6, 24
	s_add_i32 s9, s9, s8
	s_waitcnt vmcnt(0)
	v_add_co_u32 v8, vcc_lo, v0, s10
	v_add_co_ci_u32_e32 v9, vcc_lo, s9, v1, vcc_lo
	s_and_saveexec_b32 s8, s0
	s_cbranch_execz .LBB6_770
; %bb.769:
	v_dual_mov_b32 v4, s1 :: v_dual_mov_b32 v7, 1
	v_mov_b32_e32 v6, 2
	global_store_b128 v[8:9], v[4:7], off offset:8
.LBB6_770:
	s_or_b32 exec_lo, exec_lo, s8
	s_lshl_b64 s[6:7], s[6:7], 12
	v_dual_mov_b32 v7, v5 :: v_dual_lshlrev_b32 v28, 6, v29
	v_add_co_u32 v2, vcc_lo, v2, s6
	v_add_co_ci_u32_e32 v3, vcc_lo, s7, v3, vcc_lo
	s_mov_b32 s8, 0
	s_delay_alu instid0(VALU_DEP_2)
	v_add_co_u32 v10, vcc_lo, v2, v28
	s_mov_b32 s11, s8
	s_mov_b32 s9, s8
	;; [unrolled: 1-line block ×3, first 2 shown]
	v_dual_mov_b32 v4, 33 :: v_dual_mov_b32 v15, s11
	v_dual_mov_b32 v6, v5 :: v_dual_mov_b32 v13, s9
	v_readfirstlane_b32 s6, v2
	v_readfirstlane_b32 s7, v3
	v_add_co_ci_u32_e32 v11, vcc_lo, 0, v3, vcc_lo
	v_mov_b32_e32 v14, s10
	v_mov_b32_e32 v12, s8
	s_clause 0x3
	global_store_b128 v28, v[4:7], s[6:7]
	global_store_b128 v28, v[12:15], s[6:7] offset:16
	global_store_b128 v28, v[12:15], s[6:7] offset:32
	;; [unrolled: 1-line block ×3, first 2 shown]
	s_and_saveexec_b32 s1, s0
	s_cbranch_execz .LBB6_778
; %bb.771:
	v_mov_b32_e32 v6, 0
	s_mov_b32 s6, exec_lo
	s_clause 0x1
	global_load_b64 v[14:15], v6, s[2:3] offset:32 glc
	global_load_b64 v[2:3], v6, s[2:3] offset:40
	v_dual_mov_b32 v13, s5 :: v_dual_mov_b32 v12, s4
	s_waitcnt vmcnt(0)
	v_and_b32_e32 v3, s5, v3
	v_and_b32_e32 v2, s4, v2
	s_delay_alu instid0(VALU_DEP_2) | instskip(NEXT) | instid1(VALU_DEP_2)
	v_mul_lo_u32 v3, v3, 24
	v_mul_hi_u32 v4, v2, 24
	v_mul_lo_u32 v2, v2, 24
	s_delay_alu instid0(VALU_DEP_2) | instskip(NEXT) | instid1(VALU_DEP_2)
	v_add_nc_u32_e32 v3, v4, v3
	v_add_co_u32 v4, vcc_lo, v0, v2
	s_delay_alu instid0(VALU_DEP_2)
	v_add_co_ci_u32_e32 v5, vcc_lo, v1, v3, vcc_lo
	global_store_b64 v[4:5], v[14:15], off
	s_waitcnt_vscnt null, 0x0
	global_atomic_cmpswap_b64 v[2:3], v6, v[12:15], s[2:3] offset:32 glc
	s_waitcnt vmcnt(0)
	v_cmpx_ne_u64_e64 v[2:3], v[14:15]
	s_cbranch_execz .LBB6_774
; %bb.772:
	s_mov_b32 s7, 0
.LBB6_773:                              ; =>This Inner Loop Header: Depth=1
	v_dual_mov_b32 v0, s4 :: v_dual_mov_b32 v1, s5
	s_sleep 1
	global_store_b64 v[4:5], v[2:3], off
	s_waitcnt_vscnt null, 0x0
	global_atomic_cmpswap_b64 v[0:1], v6, v[0:3], s[2:3] offset:32 glc
	s_waitcnt vmcnt(0)
	v_cmp_eq_u64_e32 vcc_lo, v[0:1], v[2:3]
	v_dual_mov_b32 v3, v1 :: v_dual_mov_b32 v2, v0
	s_or_b32 s7, vcc_lo, s7
	s_delay_alu instid0(SALU_CYCLE_1)
	s_and_not1_b32 exec_lo, exec_lo, s7
	s_cbranch_execnz .LBB6_773
.LBB6_774:
	s_or_b32 exec_lo, exec_lo, s6
	v_mov_b32_e32 v3, 0
	s_mov_b32 s7, exec_lo
	s_mov_b32 s6, exec_lo
	v_mbcnt_lo_u32_b32 v2, s7, 0
	global_load_b64 v[0:1], v3, s[2:3] offset:16
	v_cmpx_eq_u32_e32 0, v2
	s_cbranch_execz .LBB6_776
; %bb.775:
	s_bcnt1_i32_b32 s7, s7
	s_delay_alu instid0(SALU_CYCLE_1)
	v_mov_b32_e32 v2, s7
	s_waitcnt vmcnt(0)
	global_atomic_add_u64 v[0:1], v[2:3], off offset:8
.LBB6_776:
	s_or_b32 exec_lo, exec_lo, s6
	s_waitcnt vmcnt(0)
	global_load_b64 v[2:3], v[0:1], off offset:16
	s_waitcnt vmcnt(0)
	v_cmp_eq_u64_e32 vcc_lo, 0, v[2:3]
	s_cbranch_vccnz .LBB6_778
; %bb.777:
	global_load_b32 v0, v[0:1], off offset:24
	s_waitcnt vmcnt(0)
	v_dual_mov_b32 v1, 0 :: v_dual_and_b32 v4, 0xffffff, v0
	s_waitcnt_vscnt null, 0x0
	global_store_b64 v[2:3], v[0:1], off
	v_readfirstlane_b32 m0, v4
	s_sendmsg sendmsg(MSG_INTERRUPT)
.LBB6_778:
	s_or_b32 exec_lo, exec_lo, s1
	s_branch .LBB6_780
.LBB6_779:
	s_branch .LBB6_784
.LBB6_780:                              ; =>This Inner Loop Header: Depth=1
	v_mov_b32_e32 v0, 1
	s_and_saveexec_b32 s1, s0
	s_cbranch_execz .LBB6_782
; %bb.781:                              ;   in Loop: Header=BB6_780 Depth=1
	global_load_b32 v0, v[8:9], off offset:20 glc
	s_waitcnt vmcnt(0)
	buffer_gl1_inv
	buffer_gl0_inv
	v_and_b32_e32 v0, 1, v0
.LBB6_782:                              ;   in Loop: Header=BB6_780 Depth=1
	s_or_b32 exec_lo, exec_lo, s1
	s_delay_alu instid0(VALU_DEP_1) | instskip(NEXT) | instid1(VALU_DEP_1)
	v_readfirstlane_b32 s1, v0
	s_cmp_eq_u32 s1, 0
	s_cbranch_scc1 .LBB6_779
; %bb.783:                              ;   in Loop: Header=BB6_780 Depth=1
	s_sleep 1
	s_cbranch_execnz .LBB6_780
.LBB6_784:
	global_load_b64 v[0:1], v[10:11], off
	s_and_saveexec_b32 s1, s0
	s_cbranch_execz .LBB6_788
; %bb.785:
	v_mov_b32_e32 v8, 0
	s_clause 0x2
	global_load_b64 v[4:5], v8, s[2:3] offset:40
	global_load_b64 v[9:10], v8, s[2:3] offset:24 glc
	global_load_b64 v[6:7], v8, s[2:3]
	s_waitcnt vmcnt(2)
	v_add_co_u32 v11, vcc_lo, v4, 1
	v_add_co_ci_u32_e32 v12, vcc_lo, 0, v5, vcc_lo
	s_delay_alu instid0(VALU_DEP_2) | instskip(NEXT) | instid1(VALU_DEP_2)
	v_add_co_u32 v2, vcc_lo, v11, s4
	v_add_co_ci_u32_e32 v3, vcc_lo, s5, v12, vcc_lo
	s_delay_alu instid0(VALU_DEP_1) | instskip(SKIP_1) | instid1(VALU_DEP_1)
	v_cmp_eq_u64_e32 vcc_lo, 0, v[2:3]
	v_dual_cndmask_b32 v3, v3, v12 :: v_dual_cndmask_b32 v2, v2, v11
	v_and_b32_e32 v5, v3, v5
	s_delay_alu instid0(VALU_DEP_2) | instskip(NEXT) | instid1(VALU_DEP_2)
	v_and_b32_e32 v4, v2, v4
	v_mul_lo_u32 v5, v5, 24
	s_delay_alu instid0(VALU_DEP_2) | instskip(SKIP_1) | instid1(VALU_DEP_2)
	v_mul_hi_u32 v11, v4, 24
	v_mul_lo_u32 v4, v4, 24
	v_add_nc_u32_e32 v5, v11, v5
	s_waitcnt vmcnt(0)
	s_delay_alu instid0(VALU_DEP_2) | instskip(SKIP_1) | instid1(VALU_DEP_3)
	v_add_co_u32 v6, vcc_lo, v6, v4
	v_mov_b32_e32 v4, v9
	v_add_co_ci_u32_e32 v7, vcc_lo, v7, v5, vcc_lo
	v_mov_b32_e32 v5, v10
	global_store_b64 v[6:7], v[9:10], off
	s_waitcnt_vscnt null, 0x0
	global_atomic_cmpswap_b64 v[4:5], v8, v[2:5], s[2:3] offset:24 glc
	s_waitcnt vmcnt(0)
	v_cmp_ne_u64_e32 vcc_lo, v[4:5], v[9:10]
	s_and_b32 exec_lo, exec_lo, vcc_lo
	s_cbranch_execz .LBB6_788
; %bb.786:
	s_mov_b32 s0, 0
.LBB6_787:                              ; =>This Inner Loop Header: Depth=1
	s_sleep 1
	global_store_b64 v[6:7], v[4:5], off
	s_waitcnt_vscnt null, 0x0
	global_atomic_cmpswap_b64 v[9:10], v8, v[2:5], s[2:3] offset:24 glc
	s_waitcnt vmcnt(0)
	v_cmp_eq_u64_e32 vcc_lo, v[9:10], v[4:5]
	v_dual_mov_b32 v4, v9 :: v_dual_mov_b32 v5, v10
	s_or_b32 s0, vcc_lo, s0
	s_delay_alu instid0(SALU_CYCLE_1)
	s_and_not1_b32 exec_lo, exec_lo, s0
	s_cbranch_execnz .LBB6_787
.LBB6_788:
	s_or_b32 exec_lo, exec_lo, s1
	s_getpc_b64 s[4:5]
	s_add_u32 s4, s4, .str.28@rel32@lo+4
	s_addc_u32 s5, s5, .str.28@rel32@hi+12
	s_delay_alu instid0(SALU_CYCLE_1)
	s_cmp_lg_u64 s[4:5], 0
	s_cbranch_scc0 .LBB6_873
; %bb.789:
	s_waitcnt vmcnt(0)
	v_dual_mov_b32 v7, v1 :: v_dual_and_b32 v6, -3, v0
	v_dual_mov_b32 v3, 0 :: v_dual_mov_b32 v4, 2
	v_mov_b32_e32 v5, 1
	s_mov_b64 s[6:7], 35
	s_branch .LBB6_791
.LBB6_790:                              ;   in Loop: Header=BB6_791 Depth=1
	s_or_b32 exec_lo, exec_lo, s1
	s_sub_u32 s6, s6, s8
	s_subb_u32 s7, s7, s9
	s_add_u32 s4, s4, s8
	s_addc_u32 s5, s5, s9
	s_cmp_lg_u64 s[6:7], 0
	s_cbranch_scc0 .LBB6_872
.LBB6_791:                              ; =>This Loop Header: Depth=1
                                        ;     Child Loop BB6_794 Depth 2
                                        ;     Child Loop BB6_799 Depth 2
	;; [unrolled: 1-line block ×11, first 2 shown]
	v_cmp_lt_u64_e64 s0, s[6:7], 56
	v_cmp_gt_u64_e64 s1, s[6:7], 7
                                        ; implicit-def: $sgpr14
	s_delay_alu instid0(VALU_DEP_2) | instskip(SKIP_2) | instid1(VALU_DEP_1)
	s_and_b32 s0, s0, exec_lo
	s_cselect_b32 s9, s7, 0
	s_cselect_b32 s8, s6, 56
	s_and_b32 vcc_lo, exec_lo, s1
	s_mov_b32 s0, -1
	s_cbranch_vccnz .LBB6_801
; %bb.792:                              ;   in Loop: Header=BB6_791 Depth=1
	s_waitcnt vmcnt(0)
	v_mov_b32_e32 v8, 0
	v_mov_b32_e32 v9, 0
	s_cmp_eq_u64 s[6:7], 0
	s_mov_b64 s[0:1], 0
	s_cbranch_scc1 .LBB6_795
; %bb.793:                              ;   in Loop: Header=BB6_791 Depth=1
	v_mov_b32_e32 v8, 0
	v_mov_b32_e32 v9, 0
	s_lshl_b64 s[10:11], s[8:9], 3
	s_mov_b64 s[12:13], s[4:5]
.LBB6_794:                              ;   Parent Loop BB6_791 Depth=1
                                        ; =>  This Inner Loop Header: Depth=2
	global_load_u8 v2, v3, s[12:13]
	s_waitcnt vmcnt(0)
	v_and_b32_e32 v2, 0xffff, v2
	s_delay_alu instid0(VALU_DEP_1)
	v_lshlrev_b64 v[10:11], s0, v[2:3]
	s_add_u32 s0, s0, 8
	s_addc_u32 s1, s1, 0
	s_add_u32 s12, s12, 1
	s_addc_u32 s13, s13, 0
	s_cmp_lg_u32 s10, s0
	v_or_b32_e32 v8, v10, v8
	v_or_b32_e32 v9, v11, v9
	s_cbranch_scc1 .LBB6_794
.LBB6_795:                              ;   in Loop: Header=BB6_791 Depth=1
	s_mov_b32 s14, 0
	s_mov_b64 s[0:1], s[4:5]
	s_cbranch_execz .LBB6_802
.LBB6_796:                              ;   in Loop: Header=BB6_791 Depth=1
	s_cmp_gt_u32 s14, 7
	s_cbranch_scc1 .LBB6_803
.LBB6_797:                              ;   in Loop: Header=BB6_791 Depth=1
	v_mov_b32_e32 v10, 0
	v_mov_b32_e32 v11, 0
	s_cmp_eq_u32 s14, 0
	s_cbranch_scc1 .LBB6_800
; %bb.798:                              ;   in Loop: Header=BB6_791 Depth=1
	s_mov_b64 s[10:11], 0
	s_mov_b64 s[12:13], 0
.LBB6_799:                              ;   Parent Loop BB6_791 Depth=1
                                        ; =>  This Inner Loop Header: Depth=2
	s_delay_alu instid0(SALU_CYCLE_1)
	s_add_u32 vcc_lo, s0, s12
	s_addc_u32 vcc_hi, s1, s13
	s_add_u32 s12, s12, 1
	global_load_u8 v2, v3, vcc
	s_addc_u32 s13, s13, 0
	s_waitcnt vmcnt(0)
	v_and_b32_e32 v2, 0xffff, v2
	s_delay_alu instid0(VALU_DEP_1) | instskip(SKIP_3) | instid1(VALU_DEP_1)
	v_lshlrev_b64 v[12:13], s10, v[2:3]
	s_add_u32 s10, s10, 8
	s_addc_u32 s11, s11, 0
	s_cmp_lg_u32 s14, s12
	v_or_b32_e32 v10, v12, v10
	s_delay_alu instid0(VALU_DEP_2)
	v_or_b32_e32 v11, v13, v11
	s_cbranch_scc1 .LBB6_799
.LBB6_800:                              ;   in Loop: Header=BB6_791 Depth=1
	s_mov_b32 s10, 0
	s_mov_b32 s15, 0
	s_branch .LBB6_804
.LBB6_801:                              ;   in Loop: Header=BB6_791 Depth=1
	s_and_not1_b32 vcc_lo, exec_lo, s0
	s_mov_b64 s[0:1], s[4:5]
	s_cbranch_vccnz .LBB6_796
.LBB6_802:                              ;   in Loop: Header=BB6_791 Depth=1
	global_load_b64 v[8:9], v3, s[4:5]
	s_add_i32 s14, s8, -8
	s_add_u32 s0, s4, 8
	s_addc_u32 s1, s5, 0
	s_cmp_gt_u32 s14, 7
	s_cbranch_scc0 .LBB6_797
.LBB6_803:                              ;   in Loop: Header=BB6_791 Depth=1
	s_mov_b32 s10, -1
                                        ; implicit-def: $vgpr10_vgpr11
                                        ; implicit-def: $sgpr15
.LBB6_804:                              ;   in Loop: Header=BB6_791 Depth=1
	s_delay_alu instid0(SALU_CYCLE_1)
	s_and_not1_b32 vcc_lo, exec_lo, s10
	s_cbranch_vccnz .LBB6_806
; %bb.805:                              ;   in Loop: Header=BB6_791 Depth=1
	global_load_b64 v[10:11], v3, s[0:1]
	s_add_i32 s15, s14, -8
	s_add_u32 s0, s0, 8
	s_addc_u32 s1, s1, 0
.LBB6_806:                              ;   in Loop: Header=BB6_791 Depth=1
	s_cmp_gt_u32 s15, 7
	s_cbranch_scc1 .LBB6_811
; %bb.807:                              ;   in Loop: Header=BB6_791 Depth=1
	v_mov_b32_e32 v12, 0
	v_mov_b32_e32 v13, 0
	s_cmp_eq_u32 s15, 0
	s_cbranch_scc1 .LBB6_810
; %bb.808:                              ;   in Loop: Header=BB6_791 Depth=1
	s_mov_b64 s[10:11], 0
	s_mov_b64 s[12:13], 0
.LBB6_809:                              ;   Parent Loop BB6_791 Depth=1
                                        ; =>  This Inner Loop Header: Depth=2
	s_delay_alu instid0(SALU_CYCLE_1)
	s_add_u32 vcc_lo, s0, s12
	s_addc_u32 vcc_hi, s1, s13
	s_add_u32 s12, s12, 1
	global_load_u8 v2, v3, vcc
	s_addc_u32 s13, s13, 0
	s_waitcnt vmcnt(0)
	v_and_b32_e32 v2, 0xffff, v2
	s_delay_alu instid0(VALU_DEP_1) | instskip(SKIP_3) | instid1(VALU_DEP_1)
	v_lshlrev_b64 v[14:15], s10, v[2:3]
	s_add_u32 s10, s10, 8
	s_addc_u32 s11, s11, 0
	s_cmp_lg_u32 s15, s12
	v_or_b32_e32 v12, v14, v12
	s_delay_alu instid0(VALU_DEP_2)
	v_or_b32_e32 v13, v15, v13
	s_cbranch_scc1 .LBB6_809
.LBB6_810:                              ;   in Loop: Header=BB6_791 Depth=1
	s_mov_b32 s10, 0
	s_mov_b32 s14, 0
	s_branch .LBB6_812
.LBB6_811:                              ;   in Loop: Header=BB6_791 Depth=1
	s_mov_b32 s10, -1
                                        ; implicit-def: $sgpr14
.LBB6_812:                              ;   in Loop: Header=BB6_791 Depth=1
	s_delay_alu instid0(SALU_CYCLE_1)
	s_and_not1_b32 vcc_lo, exec_lo, s10
	s_cbranch_vccnz .LBB6_814
; %bb.813:                              ;   in Loop: Header=BB6_791 Depth=1
	global_load_b64 v[12:13], v3, s[0:1]
	s_add_i32 s14, s15, -8
	s_add_u32 s0, s0, 8
	s_addc_u32 s1, s1, 0
.LBB6_814:                              ;   in Loop: Header=BB6_791 Depth=1
	s_cmp_gt_u32 s14, 7
	s_cbranch_scc1 .LBB6_819
; %bb.815:                              ;   in Loop: Header=BB6_791 Depth=1
	v_mov_b32_e32 v14, 0
	v_mov_b32_e32 v15, 0
	s_cmp_eq_u32 s14, 0
	s_cbranch_scc1 .LBB6_818
; %bb.816:                              ;   in Loop: Header=BB6_791 Depth=1
	s_mov_b64 s[10:11], 0
	s_mov_b64 s[12:13], 0
.LBB6_817:                              ;   Parent Loop BB6_791 Depth=1
                                        ; =>  This Inner Loop Header: Depth=2
	s_delay_alu instid0(SALU_CYCLE_1)
	s_add_u32 vcc_lo, s0, s12
	s_addc_u32 vcc_hi, s1, s13
	s_add_u32 s12, s12, 1
	global_load_u8 v2, v3, vcc
	s_addc_u32 s13, s13, 0
	s_waitcnt vmcnt(0)
	v_and_b32_e32 v2, 0xffff, v2
	s_delay_alu instid0(VALU_DEP_1) | instskip(SKIP_3) | instid1(VALU_DEP_1)
	v_lshlrev_b64 v[16:17], s10, v[2:3]
	s_add_u32 s10, s10, 8
	s_addc_u32 s11, s11, 0
	s_cmp_lg_u32 s14, s12
	v_or_b32_e32 v14, v16, v14
	s_delay_alu instid0(VALU_DEP_2)
	v_or_b32_e32 v15, v17, v15
	s_cbranch_scc1 .LBB6_817
.LBB6_818:                              ;   in Loop: Header=BB6_791 Depth=1
	s_mov_b32 s10, 0
	s_mov_b32 s15, 0
	s_branch .LBB6_820
.LBB6_819:                              ;   in Loop: Header=BB6_791 Depth=1
	s_mov_b32 s10, -1
                                        ; implicit-def: $vgpr14_vgpr15
                                        ; implicit-def: $sgpr15
.LBB6_820:                              ;   in Loop: Header=BB6_791 Depth=1
	s_delay_alu instid0(SALU_CYCLE_1)
	s_and_not1_b32 vcc_lo, exec_lo, s10
	s_cbranch_vccnz .LBB6_822
; %bb.821:                              ;   in Loop: Header=BB6_791 Depth=1
	global_load_b64 v[14:15], v3, s[0:1]
	s_add_i32 s15, s14, -8
	s_add_u32 s0, s0, 8
	s_addc_u32 s1, s1, 0
.LBB6_822:                              ;   in Loop: Header=BB6_791 Depth=1
	s_cmp_gt_u32 s15, 7
	s_cbranch_scc1 .LBB6_827
; %bb.823:                              ;   in Loop: Header=BB6_791 Depth=1
	v_mov_b32_e32 v16, 0
	v_mov_b32_e32 v17, 0
	s_cmp_eq_u32 s15, 0
	s_cbranch_scc1 .LBB6_826
; %bb.824:                              ;   in Loop: Header=BB6_791 Depth=1
	s_mov_b64 s[10:11], 0
	s_mov_b64 s[12:13], 0
.LBB6_825:                              ;   Parent Loop BB6_791 Depth=1
                                        ; =>  This Inner Loop Header: Depth=2
	s_delay_alu instid0(SALU_CYCLE_1)
	s_add_u32 vcc_lo, s0, s12
	s_addc_u32 vcc_hi, s1, s13
	s_add_u32 s12, s12, 1
	global_load_u8 v2, v3, vcc
	s_addc_u32 s13, s13, 0
	s_waitcnt vmcnt(0)
	v_and_b32_e32 v2, 0xffff, v2
	s_delay_alu instid0(VALU_DEP_1) | instskip(SKIP_3) | instid1(VALU_DEP_1)
	v_lshlrev_b64 v[18:19], s10, v[2:3]
	s_add_u32 s10, s10, 8
	s_addc_u32 s11, s11, 0
	s_cmp_lg_u32 s15, s12
	v_or_b32_e32 v16, v18, v16
	s_delay_alu instid0(VALU_DEP_2)
	v_or_b32_e32 v17, v19, v17
	s_cbranch_scc1 .LBB6_825
.LBB6_826:                              ;   in Loop: Header=BB6_791 Depth=1
	s_mov_b32 s10, 0
	s_mov_b32 s14, 0
	s_branch .LBB6_828
.LBB6_827:                              ;   in Loop: Header=BB6_791 Depth=1
	s_mov_b32 s10, -1
                                        ; implicit-def: $sgpr14
.LBB6_828:                              ;   in Loop: Header=BB6_791 Depth=1
	s_delay_alu instid0(SALU_CYCLE_1)
	s_and_not1_b32 vcc_lo, exec_lo, s10
	s_cbranch_vccnz .LBB6_830
; %bb.829:                              ;   in Loop: Header=BB6_791 Depth=1
	global_load_b64 v[16:17], v3, s[0:1]
	s_add_i32 s14, s15, -8
	s_add_u32 s0, s0, 8
	s_addc_u32 s1, s1, 0
.LBB6_830:                              ;   in Loop: Header=BB6_791 Depth=1
	s_cmp_gt_u32 s14, 7
	s_cbranch_scc1 .LBB6_835
; %bb.831:                              ;   in Loop: Header=BB6_791 Depth=1
	v_mov_b32_e32 v18, 0
	v_mov_b32_e32 v19, 0
	s_cmp_eq_u32 s14, 0
	s_cbranch_scc1 .LBB6_834
; %bb.832:                              ;   in Loop: Header=BB6_791 Depth=1
	s_mov_b64 s[10:11], 0
	s_mov_b64 s[12:13], 0
.LBB6_833:                              ;   Parent Loop BB6_791 Depth=1
                                        ; =>  This Inner Loop Header: Depth=2
	s_delay_alu instid0(SALU_CYCLE_1)
	s_add_u32 vcc_lo, s0, s12
	s_addc_u32 vcc_hi, s1, s13
	s_add_u32 s12, s12, 1
	global_load_u8 v2, v3, vcc
	s_addc_u32 s13, s13, 0
	s_waitcnt vmcnt(0)
	v_and_b32_e32 v2, 0xffff, v2
	s_delay_alu instid0(VALU_DEP_1) | instskip(SKIP_3) | instid1(VALU_DEP_1)
	v_lshlrev_b64 v[20:21], s10, v[2:3]
	s_add_u32 s10, s10, 8
	s_addc_u32 s11, s11, 0
	s_cmp_lg_u32 s14, s12
	v_or_b32_e32 v18, v20, v18
	s_delay_alu instid0(VALU_DEP_2)
	v_or_b32_e32 v19, v21, v19
	s_cbranch_scc1 .LBB6_833
.LBB6_834:                              ;   in Loop: Header=BB6_791 Depth=1
	s_mov_b32 s10, 0
	s_mov_b32 s15, 0
	s_branch .LBB6_836
.LBB6_835:                              ;   in Loop: Header=BB6_791 Depth=1
	s_mov_b32 s10, -1
                                        ; implicit-def: $vgpr18_vgpr19
                                        ; implicit-def: $sgpr15
.LBB6_836:                              ;   in Loop: Header=BB6_791 Depth=1
	s_delay_alu instid0(SALU_CYCLE_1)
	s_and_not1_b32 vcc_lo, exec_lo, s10
	s_cbranch_vccnz .LBB6_838
; %bb.837:                              ;   in Loop: Header=BB6_791 Depth=1
	global_load_b64 v[18:19], v3, s[0:1]
	s_add_i32 s15, s14, -8
	s_add_u32 s0, s0, 8
	s_addc_u32 s1, s1, 0
.LBB6_838:                              ;   in Loop: Header=BB6_791 Depth=1
	s_cmp_gt_u32 s15, 7
	s_cbranch_scc1 .LBB6_843
; %bb.839:                              ;   in Loop: Header=BB6_791 Depth=1
	v_mov_b32_e32 v20, 0
	v_mov_b32_e32 v21, 0
	s_cmp_eq_u32 s15, 0
	s_cbranch_scc1 .LBB6_842
; %bb.840:                              ;   in Loop: Header=BB6_791 Depth=1
	s_mov_b64 s[10:11], 0
	s_mov_b64 s[12:13], s[0:1]
.LBB6_841:                              ;   Parent Loop BB6_791 Depth=1
                                        ; =>  This Inner Loop Header: Depth=2
	global_load_u8 v2, v3, s[12:13]
	s_add_i32 s15, s15, -1
	s_waitcnt vmcnt(0)
	v_and_b32_e32 v2, 0xffff, v2
	s_delay_alu instid0(VALU_DEP_1)
	v_lshlrev_b64 v[22:23], s10, v[2:3]
	s_add_u32 s10, s10, 8
	s_addc_u32 s11, s11, 0
	s_add_u32 s12, s12, 1
	s_addc_u32 s13, s13, 0
	s_cmp_lg_u32 s15, 0
	v_or_b32_e32 v20, v22, v20
	v_or_b32_e32 v21, v23, v21
	s_cbranch_scc1 .LBB6_841
.LBB6_842:                              ;   in Loop: Header=BB6_791 Depth=1
	s_mov_b32 s10, 0
	s_branch .LBB6_844
.LBB6_843:                              ;   in Loop: Header=BB6_791 Depth=1
	s_mov_b32 s10, -1
.LBB6_844:                              ;   in Loop: Header=BB6_791 Depth=1
	s_delay_alu instid0(SALU_CYCLE_1)
	s_and_not1_b32 vcc_lo, exec_lo, s10
	s_cbranch_vccnz .LBB6_846
; %bb.845:                              ;   in Loop: Header=BB6_791 Depth=1
	global_load_b64 v[20:21], v3, s[0:1]
.LBB6_846:                              ;   in Loop: Header=BB6_791 Depth=1
	v_readfirstlane_b32 s0, v29
	v_mov_b32_e32 v26, 0
	v_mov_b32_e32 v27, 0
	s_delay_alu instid0(VALU_DEP_3) | instskip(NEXT) | instid1(VALU_DEP_1)
	v_cmp_eq_u32_e64 s0, s0, v29
	s_and_saveexec_b32 s1, s0
	s_cbranch_execz .LBB6_852
; %bb.847:                              ;   in Loop: Header=BB6_791 Depth=1
	global_load_b64 v[24:25], v3, s[2:3] offset:24 glc
	s_waitcnt vmcnt(0)
	buffer_gl1_inv
	buffer_gl0_inv
	s_clause 0x1
	global_load_b64 v[22:23], v3, s[2:3] offset:40
	global_load_b64 v[26:27], v3, s[2:3]
	s_mov_b32 s10, exec_lo
	s_waitcnt vmcnt(1)
	v_and_b32_e32 v2, v23, v25
	v_and_b32_e32 v22, v22, v24
	s_delay_alu instid0(VALU_DEP_2) | instskip(NEXT) | instid1(VALU_DEP_2)
	v_mul_lo_u32 v2, v2, 24
	v_mul_hi_u32 v23, v22, 24
	v_mul_lo_u32 v22, v22, 24
	s_delay_alu instid0(VALU_DEP_2) | instskip(SKIP_1) | instid1(VALU_DEP_2)
	v_add_nc_u32_e32 v2, v23, v2
	s_waitcnt vmcnt(0)
	v_add_co_u32 v22, vcc_lo, v26, v22
	s_delay_alu instid0(VALU_DEP_2)
	v_add_co_ci_u32_e32 v23, vcc_lo, v27, v2, vcc_lo
	global_load_b64 v[22:23], v[22:23], off glc
	s_waitcnt vmcnt(0)
	global_atomic_cmpswap_b64 v[26:27], v3, v[22:25], s[2:3] offset:24 glc
	s_waitcnt vmcnt(0)
	buffer_gl1_inv
	buffer_gl0_inv
	v_cmpx_ne_u64_e64 v[26:27], v[24:25]
	s_cbranch_execz .LBB6_851
; %bb.848:                              ;   in Loop: Header=BB6_791 Depth=1
	s_mov_b32 s11, 0
.LBB6_849:                              ;   Parent Loop BB6_791 Depth=1
                                        ; =>  This Inner Loop Header: Depth=2
	s_sleep 1
	s_clause 0x1
	global_load_b64 v[22:23], v3, s[2:3] offset:40
	global_load_b64 v[30:31], v3, s[2:3]
	v_dual_mov_b32 v24, v26 :: v_dual_mov_b32 v25, v27
	s_waitcnt vmcnt(1)
	s_delay_alu instid0(VALU_DEP_1) | instskip(SKIP_1) | instid1(VALU_DEP_1)
	v_and_b32_e32 v2, v22, v24
	s_waitcnt vmcnt(0)
	v_mad_u64_u32 v[26:27], null, v2, 24, v[30:31]
	v_and_b32_e32 v30, v23, v25
	s_delay_alu instid0(VALU_DEP_2) | instskip(NEXT) | instid1(VALU_DEP_1)
	v_mov_b32_e32 v2, v27
	v_mad_u64_u32 v[22:23], null, v30, 24, v[2:3]
	s_delay_alu instid0(VALU_DEP_1)
	v_mov_b32_e32 v27, v22
	global_load_b64 v[22:23], v[26:27], off glc
	s_waitcnt vmcnt(0)
	global_atomic_cmpswap_b64 v[26:27], v3, v[22:25], s[2:3] offset:24 glc
	s_waitcnt vmcnt(0)
	buffer_gl1_inv
	buffer_gl0_inv
	v_cmp_eq_u64_e32 vcc_lo, v[26:27], v[24:25]
	s_or_b32 s11, vcc_lo, s11
	s_delay_alu instid0(SALU_CYCLE_1)
	s_and_not1_b32 exec_lo, exec_lo, s11
	s_cbranch_execnz .LBB6_849
; %bb.850:                              ;   in Loop: Header=BB6_791 Depth=1
	s_or_b32 exec_lo, exec_lo, s11
.LBB6_851:                              ;   in Loop: Header=BB6_791 Depth=1
	s_delay_alu instid0(SALU_CYCLE_1)
	s_or_b32 exec_lo, exec_lo, s10
.LBB6_852:                              ;   in Loop: Header=BB6_791 Depth=1
	s_delay_alu instid0(SALU_CYCLE_1)
	s_or_b32 exec_lo, exec_lo, s1
	s_clause 0x1
	global_load_b64 v[30:31], v3, s[2:3] offset:40
	global_load_b128 v[22:25], v3, s[2:3]
	v_readfirstlane_b32 s10, v26
	v_readfirstlane_b32 s11, v27
	s_mov_b32 s1, exec_lo
	s_waitcnt vmcnt(1)
	v_readfirstlane_b32 s12, v30
	v_readfirstlane_b32 s13, v31
	s_delay_alu instid0(VALU_DEP_1) | instskip(NEXT) | instid1(SALU_CYCLE_1)
	s_and_b64 s[12:13], s[10:11], s[12:13]
	s_mul_i32 s14, s13, 24
	s_mul_hi_u32 s15, s12, 24
	s_mul_i32 s16, s12, 24
	s_add_i32 s15, s15, s14
	s_waitcnt vmcnt(0)
	v_add_co_u32 v26, vcc_lo, v22, s16
	v_add_co_ci_u32_e32 v27, vcc_lo, s15, v23, vcc_lo
	s_and_saveexec_b32 s14, s0
	s_cbranch_execz .LBB6_854
; %bb.853:                              ;   in Loop: Header=BB6_791 Depth=1
	v_mov_b32_e32 v2, s1
	global_store_b128 v[26:27], v[2:5], off offset:8
.LBB6_854:                              ;   in Loop: Header=BB6_791 Depth=1
	s_or_b32 exec_lo, exec_lo, s14
	s_lshl_b64 s[12:13], s[12:13], 12
	v_or_b32_e32 v2, 2, v6
	v_add_co_u32 v24, vcc_lo, v24, s12
	v_add_co_ci_u32_e32 v25, vcc_lo, s13, v25, vcc_lo
	v_cmp_gt_u64_e64 vcc_lo, s[6:7], 56
	s_lshl_b32 s1, s8, 2
	s_delay_alu instid0(VALU_DEP_3) | instskip(SKIP_4) | instid1(VALU_DEP_1)
	v_readfirstlane_b32 s12, v24
	s_add_i32 s1, s1, 28
	v_readfirstlane_b32 s13, v25
	s_and_b32 s1, s1, 0x1e0
	v_cndmask_b32_e32 v2, v2, v6, vcc_lo
	v_and_or_b32 v6, 0xffffff1f, v2, s1
	s_clause 0x3
	global_store_b128 v28, v[6:9], s[12:13]
	global_store_b128 v28, v[10:13], s[12:13] offset:16
	global_store_b128 v28, v[14:17], s[12:13] offset:32
	;; [unrolled: 1-line block ×3, first 2 shown]
	s_and_saveexec_b32 s1, s0
	s_cbranch_execz .LBB6_862
; %bb.855:                              ;   in Loop: Header=BB6_791 Depth=1
	s_clause 0x1
	global_load_b64 v[14:15], v3, s[2:3] offset:32 glc
	global_load_b64 v[6:7], v3, s[2:3] offset:40
	v_dual_mov_b32 v12, s10 :: v_dual_mov_b32 v13, s11
	s_waitcnt vmcnt(0)
	v_readfirstlane_b32 s12, v6
	v_readfirstlane_b32 s13, v7
	s_delay_alu instid0(VALU_DEP_1) | instskip(NEXT) | instid1(SALU_CYCLE_1)
	s_and_b64 s[12:13], s[12:13], s[10:11]
	s_mul_i32 s13, s13, 24
	s_mul_hi_u32 s14, s12, 24
	s_mul_i32 s12, s12, 24
	s_add_i32 s14, s14, s13
	v_add_co_u32 v10, vcc_lo, v22, s12
	v_add_co_ci_u32_e32 v11, vcc_lo, s14, v23, vcc_lo
	s_mov_b32 s12, exec_lo
	global_store_b64 v[10:11], v[14:15], off
	s_waitcnt_vscnt null, 0x0
	global_atomic_cmpswap_b64 v[8:9], v3, v[12:15], s[2:3] offset:32 glc
	s_waitcnt vmcnt(0)
	v_cmpx_ne_u64_e64 v[8:9], v[14:15]
	s_cbranch_execz .LBB6_858
; %bb.856:                              ;   in Loop: Header=BB6_791 Depth=1
	s_mov_b32 s13, 0
.LBB6_857:                              ;   Parent Loop BB6_791 Depth=1
                                        ; =>  This Inner Loop Header: Depth=2
	v_dual_mov_b32 v6, s10 :: v_dual_mov_b32 v7, s11
	s_sleep 1
	global_store_b64 v[10:11], v[8:9], off
	s_waitcnt_vscnt null, 0x0
	global_atomic_cmpswap_b64 v[6:7], v3, v[6:9], s[2:3] offset:32 glc
	s_waitcnt vmcnt(0)
	v_cmp_eq_u64_e32 vcc_lo, v[6:7], v[8:9]
	v_dual_mov_b32 v9, v7 :: v_dual_mov_b32 v8, v6
	s_or_b32 s13, vcc_lo, s13
	s_delay_alu instid0(SALU_CYCLE_1)
	s_and_not1_b32 exec_lo, exec_lo, s13
	s_cbranch_execnz .LBB6_857
.LBB6_858:                              ;   in Loop: Header=BB6_791 Depth=1
	s_or_b32 exec_lo, exec_lo, s12
	global_load_b64 v[6:7], v3, s[2:3] offset:16
	s_mov_b32 s13, exec_lo
	s_mov_b32 s12, exec_lo
	v_mbcnt_lo_u32_b32 v2, s13, 0
	s_delay_alu instid0(VALU_DEP_1)
	v_cmpx_eq_u32_e32 0, v2
	s_cbranch_execz .LBB6_860
; %bb.859:                              ;   in Loop: Header=BB6_791 Depth=1
	s_bcnt1_i32_b32 s13, s13
	s_delay_alu instid0(SALU_CYCLE_1)
	v_mov_b32_e32 v2, s13
	s_waitcnt vmcnt(0)
	global_atomic_add_u64 v[6:7], v[2:3], off offset:8
.LBB6_860:                              ;   in Loop: Header=BB6_791 Depth=1
	s_or_b32 exec_lo, exec_lo, s12
	s_waitcnt vmcnt(0)
	global_load_b64 v[8:9], v[6:7], off offset:16
	s_waitcnt vmcnt(0)
	v_cmp_eq_u64_e32 vcc_lo, 0, v[8:9]
	s_cbranch_vccnz .LBB6_862
; %bb.861:                              ;   in Loop: Header=BB6_791 Depth=1
	global_load_b32 v2, v[6:7], off offset:24
	s_waitcnt vmcnt(0)
	v_and_b32_e32 v6, 0xffffff, v2
	s_waitcnt_vscnt null, 0x0
	global_store_b64 v[8:9], v[2:3], off
	v_readfirstlane_b32 m0, v6
	s_sendmsg sendmsg(MSG_INTERRUPT)
.LBB6_862:                              ;   in Loop: Header=BB6_791 Depth=1
	s_or_b32 exec_lo, exec_lo, s1
	v_add_co_u32 v6, vcc_lo, v24, v28
	v_add_co_ci_u32_e32 v7, vcc_lo, 0, v25, vcc_lo
	s_branch .LBB6_864
.LBB6_863:                              ;   in Loop: Header=BB6_791 Depth=1
	s_branch .LBB6_868
.LBB6_864:                              ;   Parent Loop BB6_791 Depth=1
                                        ; =>  This Inner Loop Header: Depth=2
	v_mov_b32_e32 v2, 1
	s_and_saveexec_b32 s1, s0
	s_cbranch_execz .LBB6_866
; %bb.865:                              ;   in Loop: Header=BB6_864 Depth=2
	global_load_b32 v2, v[26:27], off offset:20 glc
	s_waitcnt vmcnt(0)
	buffer_gl1_inv
	buffer_gl0_inv
	v_and_b32_e32 v2, 1, v2
.LBB6_866:                              ;   in Loop: Header=BB6_864 Depth=2
	s_or_b32 exec_lo, exec_lo, s1
	s_delay_alu instid0(VALU_DEP_1) | instskip(NEXT) | instid1(VALU_DEP_1)
	v_readfirstlane_b32 s1, v2
	s_cmp_eq_u32 s1, 0
	s_cbranch_scc1 .LBB6_863
; %bb.867:                              ;   in Loop: Header=BB6_864 Depth=2
	s_sleep 1
	s_cbranch_execnz .LBB6_864
.LBB6_868:                              ;   in Loop: Header=BB6_791 Depth=1
	global_load_b128 v[6:9], v[6:7], off
	s_and_saveexec_b32 s1, s0
	s_cbranch_execz .LBB6_790
; %bb.869:                              ;   in Loop: Header=BB6_791 Depth=1
	s_clause 0x2
	global_load_b64 v[10:11], v3, s[2:3] offset:40
	global_load_b64 v[14:15], v3, s[2:3] offset:24 glc
	global_load_b64 v[12:13], v3, s[2:3]
	s_waitcnt vmcnt(2)
	v_add_co_u32 v2, vcc_lo, v10, 1
	v_add_co_ci_u32_e32 v16, vcc_lo, 0, v11, vcc_lo
	s_delay_alu instid0(VALU_DEP_2) | instskip(NEXT) | instid1(VALU_DEP_2)
	v_add_co_u32 v8, vcc_lo, v2, s10
	v_add_co_ci_u32_e32 v9, vcc_lo, s11, v16, vcc_lo
	s_delay_alu instid0(VALU_DEP_1) | instskip(SKIP_1) | instid1(VALU_DEP_1)
	v_cmp_eq_u64_e32 vcc_lo, 0, v[8:9]
	v_dual_cndmask_b32 v9, v9, v16 :: v_dual_cndmask_b32 v8, v8, v2
	v_and_b32_e32 v2, v9, v11
	s_delay_alu instid0(VALU_DEP_2) | instskip(NEXT) | instid1(VALU_DEP_2)
	v_and_b32_e32 v10, v8, v10
	v_mul_lo_u32 v2, v2, 24
	s_delay_alu instid0(VALU_DEP_2) | instskip(SKIP_1) | instid1(VALU_DEP_2)
	v_mul_hi_u32 v11, v10, 24
	v_mul_lo_u32 v10, v10, 24
	v_add_nc_u32_e32 v2, v11, v2
	s_waitcnt vmcnt(1)
	v_mov_b32_e32 v11, v15
	s_waitcnt vmcnt(0)
	s_delay_alu instid0(VALU_DEP_3)
	v_add_co_u32 v12, vcc_lo, v12, v10
	v_mov_b32_e32 v10, v14
	v_add_co_ci_u32_e32 v13, vcc_lo, v13, v2, vcc_lo
	global_store_b64 v[12:13], v[14:15], off
	s_waitcnt_vscnt null, 0x0
	global_atomic_cmpswap_b64 v[10:11], v3, v[8:11], s[2:3] offset:24 glc
	s_waitcnt vmcnt(0)
	v_cmp_ne_u64_e32 vcc_lo, v[10:11], v[14:15]
	s_and_b32 exec_lo, exec_lo, vcc_lo
	s_cbranch_execz .LBB6_790
; %bb.870:                              ;   in Loop: Header=BB6_791 Depth=1
	s_mov_b32 s0, 0
.LBB6_871:                              ;   Parent Loop BB6_791 Depth=1
                                        ; =>  This Inner Loop Header: Depth=2
	s_sleep 1
	global_store_b64 v[12:13], v[10:11], off
	s_waitcnt_vscnt null, 0x0
	global_atomic_cmpswap_b64 v[14:15], v3, v[8:11], s[2:3] offset:24 glc
	s_waitcnt vmcnt(0)
	v_cmp_eq_u64_e32 vcc_lo, v[14:15], v[10:11]
	v_dual_mov_b32 v10, v14 :: v_dual_mov_b32 v11, v15
	s_or_b32 s0, vcc_lo, s0
	s_delay_alu instid0(SALU_CYCLE_1)
	s_and_not1_b32 exec_lo, exec_lo, s0
	s_cbranch_execnz .LBB6_871
	s_branch .LBB6_790
.LBB6_872:
	s_mov_b32 s0, 0
	s_branch .LBB6_874
.LBB6_873:
	s_mov_b32 s0, -1
.LBB6_874:
	s_delay_alu instid0(SALU_CYCLE_1)
	s_and_b32 vcc_lo, exec_lo, s0
	s_cbranch_vccz .LBB6_902
; %bb.875:
	v_readfirstlane_b32 s0, v29
	s_waitcnt vmcnt(0)
	v_mov_b32_e32 v8, 0
	v_mov_b32_e32 v9, 0
	s_delay_alu instid0(VALU_DEP_3) | instskip(NEXT) | instid1(VALU_DEP_1)
	v_cmp_eq_u32_e64 s0, s0, v29
	s_and_saveexec_b32 s1, s0
	s_cbranch_execz .LBB6_881
; %bb.876:
	v_mov_b32_e32 v2, 0
	s_mov_b32 s4, exec_lo
	global_load_b64 v[5:6], v2, s[2:3] offset:24 glc
	s_waitcnt vmcnt(0)
	buffer_gl1_inv
	buffer_gl0_inv
	s_clause 0x1
	global_load_b64 v[3:4], v2, s[2:3] offset:40
	global_load_b64 v[7:8], v2, s[2:3]
	s_waitcnt vmcnt(1)
	v_and_b32_e32 v3, v3, v5
	v_and_b32_e32 v4, v4, v6
	s_delay_alu instid0(VALU_DEP_2) | instskip(NEXT) | instid1(VALU_DEP_2)
	v_mul_hi_u32 v9, v3, 24
	v_mul_lo_u32 v4, v4, 24
	v_mul_lo_u32 v3, v3, 24
	s_delay_alu instid0(VALU_DEP_2) | instskip(SKIP_1) | instid1(VALU_DEP_2)
	v_add_nc_u32_e32 v4, v9, v4
	s_waitcnt vmcnt(0)
	v_add_co_u32 v3, vcc_lo, v7, v3
	s_delay_alu instid0(VALU_DEP_2)
	v_add_co_ci_u32_e32 v4, vcc_lo, v8, v4, vcc_lo
	global_load_b64 v[3:4], v[3:4], off glc
	s_waitcnt vmcnt(0)
	global_atomic_cmpswap_b64 v[8:9], v2, v[3:6], s[2:3] offset:24 glc
	s_waitcnt vmcnt(0)
	buffer_gl1_inv
	buffer_gl0_inv
	v_cmpx_ne_u64_e64 v[8:9], v[5:6]
	s_cbranch_execz .LBB6_880
; %bb.877:
	s_mov_b32 s5, 0
.LBB6_878:                              ; =>This Inner Loop Header: Depth=1
	s_sleep 1
	s_clause 0x1
	global_load_b64 v[3:4], v2, s[2:3] offset:40
	global_load_b64 v[10:11], v2, s[2:3]
	v_dual_mov_b32 v5, v8 :: v_dual_mov_b32 v6, v9
	s_waitcnt vmcnt(1)
	s_delay_alu instid0(VALU_DEP_1) | instskip(NEXT) | instid1(VALU_DEP_2)
	v_and_b32_e32 v3, v3, v5
	v_and_b32_e32 v4, v4, v6
	s_waitcnt vmcnt(0)
	s_delay_alu instid0(VALU_DEP_2) | instskip(NEXT) | instid1(VALU_DEP_1)
	v_mad_u64_u32 v[7:8], null, v3, 24, v[10:11]
	v_mov_b32_e32 v3, v8
	s_delay_alu instid0(VALU_DEP_1)
	v_mad_u64_u32 v[8:9], null, v4, 24, v[3:4]
	global_load_b64 v[3:4], v[7:8], off glc
	s_waitcnt vmcnt(0)
	global_atomic_cmpswap_b64 v[8:9], v2, v[3:6], s[2:3] offset:24 glc
	s_waitcnt vmcnt(0)
	buffer_gl1_inv
	buffer_gl0_inv
	v_cmp_eq_u64_e32 vcc_lo, v[8:9], v[5:6]
	s_or_b32 s5, vcc_lo, s5
	s_delay_alu instid0(SALU_CYCLE_1)
	s_and_not1_b32 exec_lo, exec_lo, s5
	s_cbranch_execnz .LBB6_878
; %bb.879:
	s_or_b32 exec_lo, exec_lo, s5
.LBB6_880:
	s_delay_alu instid0(SALU_CYCLE_1)
	s_or_b32 exec_lo, exec_lo, s4
.LBB6_881:
	s_delay_alu instid0(SALU_CYCLE_1)
	s_or_b32 exec_lo, exec_lo, s1
	v_mov_b32_e32 v2, 0
	v_readfirstlane_b32 s4, v8
	v_readfirstlane_b32 s5, v9
	s_mov_b32 s1, exec_lo
	s_clause 0x1
	global_load_b64 v[10:11], v2, s[2:3] offset:40
	global_load_b128 v[4:7], v2, s[2:3]
	s_waitcnt vmcnt(1)
	v_readfirstlane_b32 s6, v10
	v_readfirstlane_b32 s7, v11
	s_delay_alu instid0(VALU_DEP_1) | instskip(NEXT) | instid1(SALU_CYCLE_1)
	s_and_b64 s[6:7], s[4:5], s[6:7]
	s_mul_i32 s8, s7, 24
	s_mul_hi_u32 s9, s6, 24
	s_mul_i32 s10, s6, 24
	s_add_i32 s9, s9, s8
	s_waitcnt vmcnt(0)
	v_add_co_u32 v8, vcc_lo, v4, s10
	v_add_co_ci_u32_e32 v9, vcc_lo, s9, v5, vcc_lo
	s_and_saveexec_b32 s8, s0
	s_cbranch_execz .LBB6_883
; %bb.882:
	v_dual_mov_b32 v10, s1 :: v_dual_mov_b32 v11, v2
	v_dual_mov_b32 v12, 2 :: v_dual_mov_b32 v13, 1
	global_store_b128 v[8:9], v[10:13], off offset:8
.LBB6_883:
	s_or_b32 exec_lo, exec_lo, s8
	s_lshl_b64 s[6:7], s[6:7], 12
	s_mov_b32 s8, 0
	v_add_co_u32 v6, vcc_lo, v6, s6
	v_add_co_ci_u32_e32 v7, vcc_lo, s7, v7, vcc_lo
	s_mov_b32 s11, s8
	s_mov_b32 s9, s8
	;; [unrolled: 1-line block ×3, first 2 shown]
	v_and_or_b32 v0, 0xffffff1d, v0, 34
	v_mov_b32_e32 v3, v2
	v_readfirstlane_b32 s6, v6
	v_readfirstlane_b32 s7, v7
	v_dual_mov_b32 v13, s11 :: v_dual_mov_b32 v10, s8
	v_dual_mov_b32 v12, s10 :: v_dual_mov_b32 v11, s9
	s_clause 0x3
	global_store_b128 v28, v[0:3], s[6:7]
	global_store_b128 v28, v[10:13], s[6:7] offset:16
	global_store_b128 v28, v[10:13], s[6:7] offset:32
	;; [unrolled: 1-line block ×3, first 2 shown]
	s_and_saveexec_b32 s1, s0
	s_cbranch_execz .LBB6_891
; %bb.884:
	v_dual_mov_b32 v6, 0 :: v_dual_mov_b32 v11, s5
	v_mov_b32_e32 v10, s4
	s_clause 0x1
	global_load_b64 v[12:13], v6, s[2:3] offset:32 glc
	global_load_b64 v[0:1], v6, s[2:3] offset:40
	s_waitcnt vmcnt(0)
	v_readfirstlane_b32 s6, v0
	v_readfirstlane_b32 s7, v1
	s_delay_alu instid0(VALU_DEP_1) | instskip(NEXT) | instid1(SALU_CYCLE_1)
	s_and_b64 s[6:7], s[6:7], s[4:5]
	s_mul_i32 s7, s7, 24
	s_mul_hi_u32 s8, s6, 24
	s_mul_i32 s6, s6, 24
	s_add_i32 s8, s8, s7
	v_add_co_u32 v4, vcc_lo, v4, s6
	v_add_co_ci_u32_e32 v5, vcc_lo, s8, v5, vcc_lo
	s_mov_b32 s6, exec_lo
	global_store_b64 v[4:5], v[12:13], off
	s_waitcnt_vscnt null, 0x0
	global_atomic_cmpswap_b64 v[2:3], v6, v[10:13], s[2:3] offset:32 glc
	s_waitcnt vmcnt(0)
	v_cmpx_ne_u64_e64 v[2:3], v[12:13]
	s_cbranch_execz .LBB6_887
; %bb.885:
	s_mov_b32 s7, 0
.LBB6_886:                              ; =>This Inner Loop Header: Depth=1
	v_dual_mov_b32 v0, s4 :: v_dual_mov_b32 v1, s5
	s_sleep 1
	global_store_b64 v[4:5], v[2:3], off
	s_waitcnt_vscnt null, 0x0
	global_atomic_cmpswap_b64 v[0:1], v6, v[0:3], s[2:3] offset:32 glc
	s_waitcnt vmcnt(0)
	v_cmp_eq_u64_e32 vcc_lo, v[0:1], v[2:3]
	v_dual_mov_b32 v3, v1 :: v_dual_mov_b32 v2, v0
	s_or_b32 s7, vcc_lo, s7
	s_delay_alu instid0(SALU_CYCLE_1)
	s_and_not1_b32 exec_lo, exec_lo, s7
	s_cbranch_execnz .LBB6_886
.LBB6_887:
	s_or_b32 exec_lo, exec_lo, s6
	v_mov_b32_e32 v3, 0
	s_mov_b32 s7, exec_lo
	s_mov_b32 s6, exec_lo
	v_mbcnt_lo_u32_b32 v2, s7, 0
	global_load_b64 v[0:1], v3, s[2:3] offset:16
	v_cmpx_eq_u32_e32 0, v2
	s_cbranch_execz .LBB6_889
; %bb.888:
	s_bcnt1_i32_b32 s7, s7
	s_delay_alu instid0(SALU_CYCLE_1)
	v_mov_b32_e32 v2, s7
	s_waitcnt vmcnt(0)
	global_atomic_add_u64 v[0:1], v[2:3], off offset:8
.LBB6_889:
	s_or_b32 exec_lo, exec_lo, s6
	s_waitcnt vmcnt(0)
	global_load_b64 v[2:3], v[0:1], off offset:16
	s_waitcnt vmcnt(0)
	v_cmp_eq_u64_e32 vcc_lo, 0, v[2:3]
	s_cbranch_vccnz .LBB6_891
; %bb.890:
	global_load_b32 v0, v[0:1], off offset:24
	s_waitcnt vmcnt(0)
	v_dual_mov_b32 v1, 0 :: v_dual_and_b32 v4, 0xffffff, v0
	s_waitcnt_vscnt null, 0x0
	global_store_b64 v[2:3], v[0:1], off
	v_readfirstlane_b32 m0, v4
	s_sendmsg sendmsg(MSG_INTERRUPT)
.LBB6_891:
	s_or_b32 exec_lo, exec_lo, s1
	s_branch .LBB6_893
.LBB6_892:
	s_branch .LBB6_897
.LBB6_893:                              ; =>This Inner Loop Header: Depth=1
	v_mov_b32_e32 v0, 1
	s_and_saveexec_b32 s1, s0
	s_cbranch_execz .LBB6_895
; %bb.894:                              ;   in Loop: Header=BB6_893 Depth=1
	global_load_b32 v0, v[8:9], off offset:20 glc
	s_waitcnt vmcnt(0)
	buffer_gl1_inv
	buffer_gl0_inv
	v_and_b32_e32 v0, 1, v0
.LBB6_895:                              ;   in Loop: Header=BB6_893 Depth=1
	s_or_b32 exec_lo, exec_lo, s1
	s_delay_alu instid0(VALU_DEP_1) | instskip(NEXT) | instid1(VALU_DEP_1)
	v_readfirstlane_b32 s1, v0
	s_cmp_eq_u32 s1, 0
	s_cbranch_scc1 .LBB6_892
; %bb.896:                              ;   in Loop: Header=BB6_893 Depth=1
	s_sleep 1
	s_cbranch_execnz .LBB6_893
.LBB6_897:
	s_and_saveexec_b32 s1, s0
	s_cbranch_execz .LBB6_901
; %bb.898:
	v_mov_b32_e32 v6, 0
	s_clause 0x2
	global_load_b64 v[2:3], v6, s[2:3] offset:40
	global_load_b64 v[7:8], v6, s[2:3] offset:24 glc
	global_load_b64 v[4:5], v6, s[2:3]
	s_waitcnt vmcnt(2)
	v_add_co_u32 v9, vcc_lo, v2, 1
	v_add_co_ci_u32_e32 v10, vcc_lo, 0, v3, vcc_lo
	s_delay_alu instid0(VALU_DEP_2) | instskip(NEXT) | instid1(VALU_DEP_2)
	v_add_co_u32 v0, vcc_lo, v9, s4
	v_add_co_ci_u32_e32 v1, vcc_lo, s5, v10, vcc_lo
	s_delay_alu instid0(VALU_DEP_1) | instskip(SKIP_1) | instid1(VALU_DEP_1)
	v_cmp_eq_u64_e32 vcc_lo, 0, v[0:1]
	v_dual_cndmask_b32 v1, v1, v10 :: v_dual_cndmask_b32 v0, v0, v9
	v_and_b32_e32 v3, v1, v3
	s_delay_alu instid0(VALU_DEP_2) | instskip(NEXT) | instid1(VALU_DEP_2)
	v_and_b32_e32 v2, v0, v2
	v_mul_lo_u32 v3, v3, 24
	s_delay_alu instid0(VALU_DEP_2) | instskip(SKIP_1) | instid1(VALU_DEP_2)
	v_mul_hi_u32 v9, v2, 24
	v_mul_lo_u32 v2, v2, 24
	v_add_nc_u32_e32 v3, v9, v3
	s_waitcnt vmcnt(0)
	s_delay_alu instid0(VALU_DEP_2) | instskip(SKIP_1) | instid1(VALU_DEP_3)
	v_add_co_u32 v4, vcc_lo, v4, v2
	v_mov_b32_e32 v2, v7
	v_add_co_ci_u32_e32 v5, vcc_lo, v5, v3, vcc_lo
	v_mov_b32_e32 v3, v8
	global_store_b64 v[4:5], v[7:8], off
	s_waitcnt_vscnt null, 0x0
	global_atomic_cmpswap_b64 v[2:3], v6, v[0:3], s[2:3] offset:24 glc
	s_waitcnt vmcnt(0)
	v_cmp_ne_u64_e32 vcc_lo, v[2:3], v[7:8]
	s_and_b32 exec_lo, exec_lo, vcc_lo
	s_cbranch_execz .LBB6_901
; %bb.899:
	s_mov_b32 s0, 0
.LBB6_900:                              ; =>This Inner Loop Header: Depth=1
	s_sleep 1
	global_store_b64 v[4:5], v[2:3], off
	s_waitcnt_vscnt null, 0x0
	global_atomic_cmpswap_b64 v[7:8], v6, v[0:3], s[2:3] offset:24 glc
	s_waitcnt vmcnt(0)
	v_cmp_eq_u64_e32 vcc_lo, v[7:8], v[2:3]
	v_dual_mov_b32 v2, v7 :: v_dual_mov_b32 v3, v8
	s_or_b32 s0, vcc_lo, s0
	s_delay_alu instid0(SALU_CYCLE_1)
	s_and_not1_b32 exec_lo, exec_lo, s0
	s_cbranch_execnz .LBB6_900
.LBB6_901:
	s_or_b32 exec_lo, exec_lo, s1
.LBB6_902:
	s_getpc_b64 s[0:1]
	s_add_u32 s0, s0, .str.29@rel32@lo+4
	s_addc_u32 s1, s1, .str.29@rel32@hi+12
	s_getpc_b64 s[2:3]
	s_add_u32 s2, s2, .str.19@rel32@lo+4
	s_addc_u32 s3, s3, .str.19@rel32@hi+12
	s_getpc_b64 s[4:5]
	s_add_u32 s4, s4, __PRETTY_FUNCTION__._ZN7VecsMemIjLi8192EE5fetchEi@rel32@lo+4
	s_addc_u32 s5, s5, __PRETTY_FUNCTION__._ZN7VecsMemIjLi8192EE5fetchEi@rel32@hi+12
	s_waitcnt vmcnt(0)
	v_dual_mov_b32 v0, s0 :: v_dual_mov_b32 v1, s1
	v_dual_mov_b32 v2, s2 :: v_dual_mov_b32 v3, s3
	;; [unrolled: 1-line block ×3, first 2 shown]
	v_mov_b32_e32 v6, s5
	s_mov_b64 s[8:9], s[44:45]
	s_getpc_b64 s[6:7]
	s_add_u32 s6, s6, __assert_fail@rel32@lo+4
	s_addc_u32 s7, s7, __assert_fail@rel32@hi+12
	s_delay_alu instid0(SALU_CYCLE_1)
	s_swappc_b64 s[30:31], s[6:7]
	s_or_b32 s0, s26, exec_lo
.LBB6_903:
	s_or_b32 exec_lo, exec_lo, s37
	s_delay_alu instid0(SALU_CYCLE_1) | instskip(SKIP_1) | instid1(SALU_CYCLE_1)
	s_and_not1_b32 s1, s26, exec_lo
	s_and_b32 s0, s0, exec_lo
	s_or_b32 s49, s1, s0
	s_or_not1_b32 s1, s36, exec_lo
.LBB6_904:
	s_or_b32 exec_lo, exec_lo, s35
	s_mov_b32 s0, 0
	s_mov_b32 s2, s41
                                        ; implicit-def: $vgpr40
	s_and_saveexec_b32 s50, s1
	s_cbranch_execz .LBB6_1445
; %bb.905:
	v_dual_mov_b32 v0, 0 :: v_dual_mov_b32 v67, 0
	v_mov_b32_e32 v68, 0
	s_mov_b32 s2, -1
	s_mov_b32 s51, s49
	s_clause 0x1
	scratch_store_b64 off, v[64:65], s33 offset:104
	scratch_store_b32 off, v0, s33 offset:116
	s_and_saveexec_b32 s35, s17
	s_cbranch_execz .LBB6_1051
; %bb.906:
	flat_load_b32 v0, v[58:59]
	s_mov_b32 s17, 0
	s_mov_b32 s0, exec_lo
	v_mov_b32_e32 v67, 0
	v_mov_b32_e32 v68, 0
	s_waitcnt vmcnt(0) lgkmcnt(0)
	v_add_nc_u32_e32 v0, v0, v66
	s_delay_alu instid0(VALU_DEP_1)
	v_cmpx_gt_i32_e32 0x2001, v0
	s_xor_b32 s0, exec_lo, s0
	s_cbranch_execz .LBB6_908
; %bb.907:
	v_ashrrev_i32_e32 v1, 31, v0
	v_mov_b32_e32 v67, 0
	s_mov_b32 s17, exec_lo
	flat_store_b32 v[58:59], v0
	v_lshlrev_b64 v[1:2], 2, v[0:1]
	v_lshlrev_b64 v[3:4], 2, v[66:67]
	s_delay_alu instid0(VALU_DEP_2) | instskip(NEXT) | instid1(VALU_DEP_3)
	v_add_co_u32 v1, vcc_lo, v58, v1
	v_add_co_ci_u32_e32 v2, vcc_lo, v59, v2, vcc_lo
	s_delay_alu instid0(VALU_DEP_2) | instskip(NEXT) | instid1(VALU_DEP_2)
	v_sub_co_u32 v1, vcc_lo, v1, v3
	v_sub_co_ci_u32_e32 v2, vcc_lo, v2, v4, vcc_lo
	s_delay_alu instid0(VALU_DEP_2) | instskip(NEXT) | instid1(VALU_DEP_2)
	v_add_co_u32 v67, vcc_lo, v1, 4
	v_add_co_ci_u32_e32 v68, vcc_lo, 0, v2, vcc_lo
.LBB6_908:
	s_or_saveexec_b32 s36, s0
	s_mov_b32 s0, s49
	s_xor_b32 exec_lo, exec_lo, s36
	s_cbranch_execz .LBB6_1050
; %bb.909:
	s_load_b64 s[2:3], s[44:45], 0x50
	v_mbcnt_lo_u32_b32 v29, -1, 0
	v_mov_b32_e32 v6, 0
	v_mov_b32_e32 v7, 0
	s_delay_alu instid0(VALU_DEP_3) | instskip(NEXT) | instid1(VALU_DEP_1)
	v_readfirstlane_b32 s0, v29
	v_cmp_eq_u32_e64 s0, s0, v29
	s_delay_alu instid0(VALU_DEP_1)
	s_and_saveexec_b32 s1, s0
	s_cbranch_execz .LBB6_915
; %bb.910:
	v_mov_b32_e32 v0, 0
	s_mov_b32 s4, exec_lo
	s_waitcnt lgkmcnt(0)
	global_load_b64 v[3:4], v0, s[2:3] offset:24 glc
	s_waitcnt vmcnt(0)
	buffer_gl1_inv
	buffer_gl0_inv
	s_clause 0x1
	global_load_b64 v[1:2], v0, s[2:3] offset:40
	global_load_b64 v[5:6], v0, s[2:3]
	s_waitcnt vmcnt(1)
	v_and_b32_e32 v1, v1, v3
	v_and_b32_e32 v2, v2, v4
	s_delay_alu instid0(VALU_DEP_2) | instskip(NEXT) | instid1(VALU_DEP_2)
	v_mul_hi_u32 v7, v1, 24
	v_mul_lo_u32 v2, v2, 24
	v_mul_lo_u32 v1, v1, 24
	s_delay_alu instid0(VALU_DEP_2) | instskip(SKIP_1) | instid1(VALU_DEP_2)
	v_add_nc_u32_e32 v2, v7, v2
	s_waitcnt vmcnt(0)
	v_add_co_u32 v1, vcc_lo, v5, v1
	s_delay_alu instid0(VALU_DEP_2)
	v_add_co_ci_u32_e32 v2, vcc_lo, v6, v2, vcc_lo
	global_load_b64 v[1:2], v[1:2], off glc
	s_waitcnt vmcnt(0)
	global_atomic_cmpswap_b64 v[6:7], v0, v[1:4], s[2:3] offset:24 glc
	s_waitcnt vmcnt(0)
	buffer_gl1_inv
	buffer_gl0_inv
	v_cmpx_ne_u64_e64 v[6:7], v[3:4]
	s_cbranch_execz .LBB6_914
; %bb.911:
	s_mov_b32 s5, 0
.LBB6_912:                              ; =>This Inner Loop Header: Depth=1
	s_sleep 1
	s_clause 0x1
	global_load_b64 v[1:2], v0, s[2:3] offset:40
	global_load_b64 v[8:9], v0, s[2:3]
	v_dual_mov_b32 v3, v6 :: v_dual_mov_b32 v4, v7
	s_waitcnt vmcnt(1)
	s_delay_alu instid0(VALU_DEP_1) | instskip(NEXT) | instid1(VALU_DEP_2)
	v_and_b32_e32 v1, v1, v3
	v_and_b32_e32 v2, v2, v4
	s_waitcnt vmcnt(0)
	s_delay_alu instid0(VALU_DEP_2) | instskip(NEXT) | instid1(VALU_DEP_1)
	v_mad_u64_u32 v[5:6], null, v1, 24, v[8:9]
	v_mov_b32_e32 v1, v6
	s_delay_alu instid0(VALU_DEP_1)
	v_mad_u64_u32 v[6:7], null, v2, 24, v[1:2]
	global_load_b64 v[1:2], v[5:6], off glc
	s_waitcnt vmcnt(0)
	global_atomic_cmpswap_b64 v[6:7], v0, v[1:4], s[2:3] offset:24 glc
	s_waitcnt vmcnt(0)
	buffer_gl1_inv
	buffer_gl0_inv
	v_cmp_eq_u64_e32 vcc_lo, v[6:7], v[3:4]
	s_or_b32 s5, vcc_lo, s5
	s_delay_alu instid0(SALU_CYCLE_1)
	s_and_not1_b32 exec_lo, exec_lo, s5
	s_cbranch_execnz .LBB6_912
; %bb.913:
	s_or_b32 exec_lo, exec_lo, s5
.LBB6_914:
	s_delay_alu instid0(SALU_CYCLE_1)
	s_or_b32 exec_lo, exec_lo, s4
.LBB6_915:
	s_delay_alu instid0(SALU_CYCLE_1)
	s_or_b32 exec_lo, exec_lo, s1
	v_mov_b32_e32 v5, 0
	v_readfirstlane_b32 s4, v6
	v_readfirstlane_b32 s5, v7
	s_mov_b32 s1, exec_lo
	s_waitcnt lgkmcnt(0)
	s_clause 0x1
	global_load_b64 v[8:9], v5, s[2:3] offset:40
	global_load_b128 v[0:3], v5, s[2:3]
	s_waitcnt vmcnt(1)
	v_readfirstlane_b32 s6, v8
	v_readfirstlane_b32 s7, v9
	s_delay_alu instid0(VALU_DEP_1) | instskip(NEXT) | instid1(SALU_CYCLE_1)
	s_and_b64 s[6:7], s[4:5], s[6:7]
	s_mul_i32 s8, s7, 24
	s_mul_hi_u32 s9, s6, 24
	s_mul_i32 s10, s6, 24
	s_add_i32 s9, s9, s8
	s_waitcnt vmcnt(0)
	v_add_co_u32 v8, vcc_lo, v0, s10
	v_add_co_ci_u32_e32 v9, vcc_lo, s9, v1, vcc_lo
	s_and_saveexec_b32 s8, s0
	s_cbranch_execz .LBB6_917
; %bb.916:
	v_dual_mov_b32 v4, s1 :: v_dual_mov_b32 v7, 1
	v_mov_b32_e32 v6, 2
	global_store_b128 v[8:9], v[4:7], off offset:8
.LBB6_917:
	s_or_b32 exec_lo, exec_lo, s8
	s_lshl_b64 s[6:7], s[6:7], 12
	v_dual_mov_b32 v7, v5 :: v_dual_lshlrev_b32 v28, 6, v29
	v_add_co_u32 v2, vcc_lo, v2, s6
	v_add_co_ci_u32_e32 v3, vcc_lo, s7, v3, vcc_lo
	s_mov_b32 s8, 0
	s_delay_alu instid0(VALU_DEP_2)
	v_add_co_u32 v10, vcc_lo, v2, v28
	s_mov_b32 s11, s8
	s_mov_b32 s9, s8
	;; [unrolled: 1-line block ×3, first 2 shown]
	v_dual_mov_b32 v4, 33 :: v_dual_mov_b32 v15, s11
	v_dual_mov_b32 v6, v5 :: v_dual_mov_b32 v13, s9
	v_readfirstlane_b32 s6, v2
	v_readfirstlane_b32 s7, v3
	v_add_co_ci_u32_e32 v11, vcc_lo, 0, v3, vcc_lo
	v_mov_b32_e32 v14, s10
	v_mov_b32_e32 v12, s8
	s_clause 0x3
	global_store_b128 v28, v[4:7], s[6:7]
	global_store_b128 v28, v[12:15], s[6:7] offset:16
	global_store_b128 v28, v[12:15], s[6:7] offset:32
	;; [unrolled: 1-line block ×3, first 2 shown]
	s_and_saveexec_b32 s1, s0
	s_cbranch_execz .LBB6_925
; %bb.918:
	v_mov_b32_e32 v6, 0
	s_mov_b32 s6, exec_lo
	s_clause 0x1
	global_load_b64 v[14:15], v6, s[2:3] offset:32 glc
	global_load_b64 v[2:3], v6, s[2:3] offset:40
	v_dual_mov_b32 v13, s5 :: v_dual_mov_b32 v12, s4
	s_waitcnt vmcnt(0)
	v_and_b32_e32 v3, s5, v3
	v_and_b32_e32 v2, s4, v2
	s_delay_alu instid0(VALU_DEP_2) | instskip(NEXT) | instid1(VALU_DEP_2)
	v_mul_lo_u32 v3, v3, 24
	v_mul_hi_u32 v4, v2, 24
	v_mul_lo_u32 v2, v2, 24
	s_delay_alu instid0(VALU_DEP_2) | instskip(NEXT) | instid1(VALU_DEP_2)
	v_add_nc_u32_e32 v3, v4, v3
	v_add_co_u32 v4, vcc_lo, v0, v2
	s_delay_alu instid0(VALU_DEP_2)
	v_add_co_ci_u32_e32 v5, vcc_lo, v1, v3, vcc_lo
	global_store_b64 v[4:5], v[14:15], off
	s_waitcnt_vscnt null, 0x0
	global_atomic_cmpswap_b64 v[2:3], v6, v[12:15], s[2:3] offset:32 glc
	s_waitcnt vmcnt(0)
	v_cmpx_ne_u64_e64 v[2:3], v[14:15]
	s_cbranch_execz .LBB6_921
; %bb.919:
	s_mov_b32 s7, 0
.LBB6_920:                              ; =>This Inner Loop Header: Depth=1
	v_dual_mov_b32 v0, s4 :: v_dual_mov_b32 v1, s5
	s_sleep 1
	global_store_b64 v[4:5], v[2:3], off
	s_waitcnt_vscnt null, 0x0
	global_atomic_cmpswap_b64 v[0:1], v6, v[0:3], s[2:3] offset:32 glc
	s_waitcnt vmcnt(0)
	v_cmp_eq_u64_e32 vcc_lo, v[0:1], v[2:3]
	v_dual_mov_b32 v3, v1 :: v_dual_mov_b32 v2, v0
	s_or_b32 s7, vcc_lo, s7
	s_delay_alu instid0(SALU_CYCLE_1)
	s_and_not1_b32 exec_lo, exec_lo, s7
	s_cbranch_execnz .LBB6_920
.LBB6_921:
	s_or_b32 exec_lo, exec_lo, s6
	v_mov_b32_e32 v3, 0
	s_mov_b32 s7, exec_lo
	s_mov_b32 s6, exec_lo
	v_mbcnt_lo_u32_b32 v2, s7, 0
	global_load_b64 v[0:1], v3, s[2:3] offset:16
	v_cmpx_eq_u32_e32 0, v2
	s_cbranch_execz .LBB6_923
; %bb.922:
	s_bcnt1_i32_b32 s7, s7
	s_delay_alu instid0(SALU_CYCLE_1)
	v_mov_b32_e32 v2, s7
	s_waitcnt vmcnt(0)
	global_atomic_add_u64 v[0:1], v[2:3], off offset:8
.LBB6_923:
	s_or_b32 exec_lo, exec_lo, s6
	s_waitcnt vmcnt(0)
	global_load_b64 v[2:3], v[0:1], off offset:16
	s_waitcnt vmcnt(0)
	v_cmp_eq_u64_e32 vcc_lo, 0, v[2:3]
	s_cbranch_vccnz .LBB6_925
; %bb.924:
	global_load_b32 v0, v[0:1], off offset:24
	s_waitcnt vmcnt(0)
	v_dual_mov_b32 v1, 0 :: v_dual_and_b32 v4, 0xffffff, v0
	s_waitcnt_vscnt null, 0x0
	global_store_b64 v[2:3], v[0:1], off
	v_readfirstlane_b32 m0, v4
	s_sendmsg sendmsg(MSG_INTERRUPT)
.LBB6_925:
	s_or_b32 exec_lo, exec_lo, s1
	s_branch .LBB6_927
.LBB6_926:
	s_branch .LBB6_931
.LBB6_927:                              ; =>This Inner Loop Header: Depth=1
	v_mov_b32_e32 v0, 1
	s_and_saveexec_b32 s1, s0
	s_cbranch_execz .LBB6_929
; %bb.928:                              ;   in Loop: Header=BB6_927 Depth=1
	global_load_b32 v0, v[8:9], off offset:20 glc
	s_waitcnt vmcnt(0)
	buffer_gl1_inv
	buffer_gl0_inv
	v_and_b32_e32 v0, 1, v0
.LBB6_929:                              ;   in Loop: Header=BB6_927 Depth=1
	s_or_b32 exec_lo, exec_lo, s1
	s_delay_alu instid0(VALU_DEP_1) | instskip(NEXT) | instid1(VALU_DEP_1)
	v_readfirstlane_b32 s1, v0
	s_cmp_eq_u32 s1, 0
	s_cbranch_scc1 .LBB6_926
; %bb.930:                              ;   in Loop: Header=BB6_927 Depth=1
	s_sleep 1
	s_cbranch_execnz .LBB6_927
.LBB6_931:
	global_load_b64 v[0:1], v[10:11], off
	s_and_saveexec_b32 s1, s0
	s_cbranch_execz .LBB6_935
; %bb.932:
	v_mov_b32_e32 v8, 0
	s_clause 0x2
	global_load_b64 v[4:5], v8, s[2:3] offset:40
	global_load_b64 v[9:10], v8, s[2:3] offset:24 glc
	global_load_b64 v[6:7], v8, s[2:3]
	s_waitcnt vmcnt(2)
	v_add_co_u32 v11, vcc_lo, v4, 1
	v_add_co_ci_u32_e32 v12, vcc_lo, 0, v5, vcc_lo
	s_delay_alu instid0(VALU_DEP_2) | instskip(NEXT) | instid1(VALU_DEP_2)
	v_add_co_u32 v2, vcc_lo, v11, s4
	v_add_co_ci_u32_e32 v3, vcc_lo, s5, v12, vcc_lo
	s_delay_alu instid0(VALU_DEP_1) | instskip(SKIP_1) | instid1(VALU_DEP_1)
	v_cmp_eq_u64_e32 vcc_lo, 0, v[2:3]
	v_dual_cndmask_b32 v3, v3, v12 :: v_dual_cndmask_b32 v2, v2, v11
	v_and_b32_e32 v5, v3, v5
	s_delay_alu instid0(VALU_DEP_2) | instskip(NEXT) | instid1(VALU_DEP_2)
	v_and_b32_e32 v4, v2, v4
	v_mul_lo_u32 v5, v5, 24
	s_delay_alu instid0(VALU_DEP_2) | instskip(SKIP_1) | instid1(VALU_DEP_2)
	v_mul_hi_u32 v11, v4, 24
	v_mul_lo_u32 v4, v4, 24
	v_add_nc_u32_e32 v5, v11, v5
	s_waitcnt vmcnt(0)
	s_delay_alu instid0(VALU_DEP_2) | instskip(SKIP_1) | instid1(VALU_DEP_3)
	v_add_co_u32 v6, vcc_lo, v6, v4
	v_mov_b32_e32 v4, v9
	v_add_co_ci_u32_e32 v7, vcc_lo, v7, v5, vcc_lo
	v_mov_b32_e32 v5, v10
	global_store_b64 v[6:7], v[9:10], off
	s_waitcnt_vscnt null, 0x0
	global_atomic_cmpswap_b64 v[4:5], v8, v[2:5], s[2:3] offset:24 glc
	s_waitcnt vmcnt(0)
	v_cmp_ne_u64_e32 vcc_lo, v[4:5], v[9:10]
	s_and_b32 exec_lo, exec_lo, vcc_lo
	s_cbranch_execz .LBB6_935
; %bb.933:
	s_mov_b32 s0, 0
.LBB6_934:                              ; =>This Inner Loop Header: Depth=1
	s_sleep 1
	global_store_b64 v[6:7], v[4:5], off
	s_waitcnt_vscnt null, 0x0
	global_atomic_cmpswap_b64 v[9:10], v8, v[2:5], s[2:3] offset:24 glc
	s_waitcnt vmcnt(0)
	v_cmp_eq_u64_e32 vcc_lo, v[9:10], v[4:5]
	v_dual_mov_b32 v4, v9 :: v_dual_mov_b32 v5, v10
	s_or_b32 s0, vcc_lo, s0
	s_delay_alu instid0(SALU_CYCLE_1)
	s_and_not1_b32 exec_lo, exec_lo, s0
	s_cbranch_execnz .LBB6_934
.LBB6_935:
	s_or_b32 exec_lo, exec_lo, s1
	s_getpc_b64 s[4:5]
	s_add_u32 s4, s4, .str.28@rel32@lo+4
	s_addc_u32 s5, s5, .str.28@rel32@hi+12
	s_delay_alu instid0(SALU_CYCLE_1)
	s_cmp_lg_u64 s[4:5], 0
	s_cbranch_scc0 .LBB6_1020
; %bb.936:
	s_waitcnt vmcnt(0)
	v_dual_mov_b32 v7, v1 :: v_dual_and_b32 v6, -3, v0
	v_dual_mov_b32 v3, 0 :: v_dual_mov_b32 v4, 2
	v_mov_b32_e32 v5, 1
	s_mov_b64 s[6:7], 35
	s_branch .LBB6_938
.LBB6_937:                              ;   in Loop: Header=BB6_938 Depth=1
	s_or_b32 exec_lo, exec_lo, s1
	s_sub_u32 s6, s6, s8
	s_subb_u32 s7, s7, s9
	s_add_u32 s4, s4, s8
	s_addc_u32 s5, s5, s9
	s_cmp_lg_u64 s[6:7], 0
	s_cbranch_scc0 .LBB6_1019
.LBB6_938:                              ; =>This Loop Header: Depth=1
                                        ;     Child Loop BB6_941 Depth 2
                                        ;     Child Loop BB6_946 Depth 2
	;; [unrolled: 1-line block ×11, first 2 shown]
	v_cmp_lt_u64_e64 s0, s[6:7], 56
	v_cmp_gt_u64_e64 s1, s[6:7], 7
                                        ; implicit-def: $sgpr14
	s_delay_alu instid0(VALU_DEP_2) | instskip(SKIP_2) | instid1(VALU_DEP_1)
	s_and_b32 s0, s0, exec_lo
	s_cselect_b32 s9, s7, 0
	s_cselect_b32 s8, s6, 56
	s_and_b32 vcc_lo, exec_lo, s1
	s_mov_b32 s0, -1
	s_cbranch_vccnz .LBB6_948
; %bb.939:                              ;   in Loop: Header=BB6_938 Depth=1
	s_waitcnt vmcnt(0)
	v_mov_b32_e32 v8, 0
	v_mov_b32_e32 v9, 0
	s_cmp_eq_u64 s[6:7], 0
	s_mov_b64 s[0:1], 0
	s_cbranch_scc1 .LBB6_942
; %bb.940:                              ;   in Loop: Header=BB6_938 Depth=1
	v_mov_b32_e32 v8, 0
	v_mov_b32_e32 v9, 0
	s_lshl_b64 s[10:11], s[8:9], 3
	s_mov_b64 s[12:13], s[4:5]
.LBB6_941:                              ;   Parent Loop BB6_938 Depth=1
                                        ; =>  This Inner Loop Header: Depth=2
	global_load_u8 v2, v3, s[12:13]
	s_waitcnt vmcnt(0)
	v_and_b32_e32 v2, 0xffff, v2
	s_delay_alu instid0(VALU_DEP_1)
	v_lshlrev_b64 v[10:11], s0, v[2:3]
	s_add_u32 s0, s0, 8
	s_addc_u32 s1, s1, 0
	s_add_u32 s12, s12, 1
	s_addc_u32 s13, s13, 0
	s_cmp_lg_u32 s10, s0
	v_or_b32_e32 v8, v10, v8
	v_or_b32_e32 v9, v11, v9
	s_cbranch_scc1 .LBB6_941
.LBB6_942:                              ;   in Loop: Header=BB6_938 Depth=1
	s_mov_b32 s14, 0
	s_mov_b64 s[0:1], s[4:5]
	s_cbranch_execz .LBB6_949
.LBB6_943:                              ;   in Loop: Header=BB6_938 Depth=1
	s_cmp_gt_u32 s14, 7
	s_cbranch_scc1 .LBB6_950
.LBB6_944:                              ;   in Loop: Header=BB6_938 Depth=1
	v_mov_b32_e32 v10, 0
	v_mov_b32_e32 v11, 0
	s_cmp_eq_u32 s14, 0
	s_cbranch_scc1 .LBB6_947
; %bb.945:                              ;   in Loop: Header=BB6_938 Depth=1
	s_mov_b64 s[10:11], 0
	s_mov_b64 s[12:13], 0
.LBB6_946:                              ;   Parent Loop BB6_938 Depth=1
                                        ; =>  This Inner Loop Header: Depth=2
	s_delay_alu instid0(SALU_CYCLE_1)
	s_add_u32 vcc_lo, s0, s12
	s_addc_u32 vcc_hi, s1, s13
	s_add_u32 s12, s12, 1
	global_load_u8 v2, v3, vcc
	s_addc_u32 s13, s13, 0
	s_waitcnt vmcnt(0)
	v_and_b32_e32 v2, 0xffff, v2
	s_delay_alu instid0(VALU_DEP_1) | instskip(SKIP_3) | instid1(VALU_DEP_1)
	v_lshlrev_b64 v[12:13], s10, v[2:3]
	s_add_u32 s10, s10, 8
	s_addc_u32 s11, s11, 0
	s_cmp_lg_u32 s14, s12
	v_or_b32_e32 v10, v12, v10
	s_delay_alu instid0(VALU_DEP_2)
	v_or_b32_e32 v11, v13, v11
	s_cbranch_scc1 .LBB6_946
.LBB6_947:                              ;   in Loop: Header=BB6_938 Depth=1
	s_mov_b32 s10, 0
	s_mov_b32 s15, 0
	s_branch .LBB6_951
.LBB6_948:                              ;   in Loop: Header=BB6_938 Depth=1
	s_and_not1_b32 vcc_lo, exec_lo, s0
	s_mov_b64 s[0:1], s[4:5]
	s_cbranch_vccnz .LBB6_943
.LBB6_949:                              ;   in Loop: Header=BB6_938 Depth=1
	global_load_b64 v[8:9], v3, s[4:5]
	s_add_i32 s14, s8, -8
	s_add_u32 s0, s4, 8
	s_addc_u32 s1, s5, 0
	s_cmp_gt_u32 s14, 7
	s_cbranch_scc0 .LBB6_944
.LBB6_950:                              ;   in Loop: Header=BB6_938 Depth=1
	s_mov_b32 s10, -1
                                        ; implicit-def: $vgpr10_vgpr11
                                        ; implicit-def: $sgpr15
.LBB6_951:                              ;   in Loop: Header=BB6_938 Depth=1
	s_delay_alu instid0(SALU_CYCLE_1)
	s_and_not1_b32 vcc_lo, exec_lo, s10
	s_cbranch_vccnz .LBB6_953
; %bb.952:                              ;   in Loop: Header=BB6_938 Depth=1
	global_load_b64 v[10:11], v3, s[0:1]
	s_add_i32 s15, s14, -8
	s_add_u32 s0, s0, 8
	s_addc_u32 s1, s1, 0
.LBB6_953:                              ;   in Loop: Header=BB6_938 Depth=1
	s_cmp_gt_u32 s15, 7
	s_cbranch_scc1 .LBB6_958
; %bb.954:                              ;   in Loop: Header=BB6_938 Depth=1
	v_mov_b32_e32 v12, 0
	v_mov_b32_e32 v13, 0
	s_cmp_eq_u32 s15, 0
	s_cbranch_scc1 .LBB6_957
; %bb.955:                              ;   in Loop: Header=BB6_938 Depth=1
	s_mov_b64 s[10:11], 0
	s_mov_b64 s[12:13], 0
.LBB6_956:                              ;   Parent Loop BB6_938 Depth=1
                                        ; =>  This Inner Loop Header: Depth=2
	s_delay_alu instid0(SALU_CYCLE_1)
	s_add_u32 vcc_lo, s0, s12
	s_addc_u32 vcc_hi, s1, s13
	s_add_u32 s12, s12, 1
	global_load_u8 v2, v3, vcc
	s_addc_u32 s13, s13, 0
	s_waitcnt vmcnt(0)
	v_and_b32_e32 v2, 0xffff, v2
	s_delay_alu instid0(VALU_DEP_1) | instskip(SKIP_3) | instid1(VALU_DEP_1)
	v_lshlrev_b64 v[14:15], s10, v[2:3]
	s_add_u32 s10, s10, 8
	s_addc_u32 s11, s11, 0
	s_cmp_lg_u32 s15, s12
	v_or_b32_e32 v12, v14, v12
	s_delay_alu instid0(VALU_DEP_2)
	v_or_b32_e32 v13, v15, v13
	s_cbranch_scc1 .LBB6_956
.LBB6_957:                              ;   in Loop: Header=BB6_938 Depth=1
	s_mov_b32 s10, 0
	s_mov_b32 s14, 0
	s_branch .LBB6_959
.LBB6_958:                              ;   in Loop: Header=BB6_938 Depth=1
	s_mov_b32 s10, -1
                                        ; implicit-def: $sgpr14
.LBB6_959:                              ;   in Loop: Header=BB6_938 Depth=1
	s_delay_alu instid0(SALU_CYCLE_1)
	s_and_not1_b32 vcc_lo, exec_lo, s10
	s_cbranch_vccnz .LBB6_961
; %bb.960:                              ;   in Loop: Header=BB6_938 Depth=1
	global_load_b64 v[12:13], v3, s[0:1]
	s_add_i32 s14, s15, -8
	s_add_u32 s0, s0, 8
	s_addc_u32 s1, s1, 0
.LBB6_961:                              ;   in Loop: Header=BB6_938 Depth=1
	s_cmp_gt_u32 s14, 7
	s_cbranch_scc1 .LBB6_966
; %bb.962:                              ;   in Loop: Header=BB6_938 Depth=1
	v_mov_b32_e32 v14, 0
	v_mov_b32_e32 v15, 0
	s_cmp_eq_u32 s14, 0
	s_cbranch_scc1 .LBB6_965
; %bb.963:                              ;   in Loop: Header=BB6_938 Depth=1
	s_mov_b64 s[10:11], 0
	s_mov_b64 s[12:13], 0
.LBB6_964:                              ;   Parent Loop BB6_938 Depth=1
                                        ; =>  This Inner Loop Header: Depth=2
	s_delay_alu instid0(SALU_CYCLE_1)
	s_add_u32 vcc_lo, s0, s12
	s_addc_u32 vcc_hi, s1, s13
	s_add_u32 s12, s12, 1
	global_load_u8 v2, v3, vcc
	s_addc_u32 s13, s13, 0
	s_waitcnt vmcnt(0)
	v_and_b32_e32 v2, 0xffff, v2
	s_delay_alu instid0(VALU_DEP_1) | instskip(SKIP_3) | instid1(VALU_DEP_1)
	v_lshlrev_b64 v[16:17], s10, v[2:3]
	s_add_u32 s10, s10, 8
	s_addc_u32 s11, s11, 0
	s_cmp_lg_u32 s14, s12
	v_or_b32_e32 v14, v16, v14
	s_delay_alu instid0(VALU_DEP_2)
	v_or_b32_e32 v15, v17, v15
	s_cbranch_scc1 .LBB6_964
.LBB6_965:                              ;   in Loop: Header=BB6_938 Depth=1
	s_mov_b32 s10, 0
	s_mov_b32 s15, 0
	s_branch .LBB6_967
.LBB6_966:                              ;   in Loop: Header=BB6_938 Depth=1
	s_mov_b32 s10, -1
                                        ; implicit-def: $vgpr14_vgpr15
                                        ; implicit-def: $sgpr15
.LBB6_967:                              ;   in Loop: Header=BB6_938 Depth=1
	s_delay_alu instid0(SALU_CYCLE_1)
	s_and_not1_b32 vcc_lo, exec_lo, s10
	s_cbranch_vccnz .LBB6_969
; %bb.968:                              ;   in Loop: Header=BB6_938 Depth=1
	global_load_b64 v[14:15], v3, s[0:1]
	s_add_i32 s15, s14, -8
	s_add_u32 s0, s0, 8
	s_addc_u32 s1, s1, 0
.LBB6_969:                              ;   in Loop: Header=BB6_938 Depth=1
	s_cmp_gt_u32 s15, 7
	s_cbranch_scc1 .LBB6_974
; %bb.970:                              ;   in Loop: Header=BB6_938 Depth=1
	v_mov_b32_e32 v16, 0
	v_mov_b32_e32 v17, 0
	s_cmp_eq_u32 s15, 0
	s_cbranch_scc1 .LBB6_973
; %bb.971:                              ;   in Loop: Header=BB6_938 Depth=1
	s_mov_b64 s[10:11], 0
	s_mov_b64 s[12:13], 0
.LBB6_972:                              ;   Parent Loop BB6_938 Depth=1
                                        ; =>  This Inner Loop Header: Depth=2
	s_delay_alu instid0(SALU_CYCLE_1)
	s_add_u32 vcc_lo, s0, s12
	s_addc_u32 vcc_hi, s1, s13
	s_add_u32 s12, s12, 1
	global_load_u8 v2, v3, vcc
	s_addc_u32 s13, s13, 0
	s_waitcnt vmcnt(0)
	v_and_b32_e32 v2, 0xffff, v2
	s_delay_alu instid0(VALU_DEP_1) | instskip(SKIP_3) | instid1(VALU_DEP_1)
	v_lshlrev_b64 v[18:19], s10, v[2:3]
	s_add_u32 s10, s10, 8
	s_addc_u32 s11, s11, 0
	s_cmp_lg_u32 s15, s12
	v_or_b32_e32 v16, v18, v16
	s_delay_alu instid0(VALU_DEP_2)
	v_or_b32_e32 v17, v19, v17
	s_cbranch_scc1 .LBB6_972
.LBB6_973:                              ;   in Loop: Header=BB6_938 Depth=1
	s_mov_b32 s10, 0
	s_mov_b32 s14, 0
	s_branch .LBB6_975
.LBB6_974:                              ;   in Loop: Header=BB6_938 Depth=1
	s_mov_b32 s10, -1
                                        ; implicit-def: $sgpr14
.LBB6_975:                              ;   in Loop: Header=BB6_938 Depth=1
	s_delay_alu instid0(SALU_CYCLE_1)
	s_and_not1_b32 vcc_lo, exec_lo, s10
	s_cbranch_vccnz .LBB6_977
; %bb.976:                              ;   in Loop: Header=BB6_938 Depth=1
	global_load_b64 v[16:17], v3, s[0:1]
	s_add_i32 s14, s15, -8
	s_add_u32 s0, s0, 8
	s_addc_u32 s1, s1, 0
.LBB6_977:                              ;   in Loop: Header=BB6_938 Depth=1
	s_cmp_gt_u32 s14, 7
	s_cbranch_scc1 .LBB6_982
; %bb.978:                              ;   in Loop: Header=BB6_938 Depth=1
	v_mov_b32_e32 v18, 0
	v_mov_b32_e32 v19, 0
	s_cmp_eq_u32 s14, 0
	s_cbranch_scc1 .LBB6_981
; %bb.979:                              ;   in Loop: Header=BB6_938 Depth=1
	s_mov_b64 s[10:11], 0
	s_mov_b64 s[12:13], 0
.LBB6_980:                              ;   Parent Loop BB6_938 Depth=1
                                        ; =>  This Inner Loop Header: Depth=2
	s_delay_alu instid0(SALU_CYCLE_1)
	s_add_u32 vcc_lo, s0, s12
	s_addc_u32 vcc_hi, s1, s13
	s_add_u32 s12, s12, 1
	global_load_u8 v2, v3, vcc
	s_addc_u32 s13, s13, 0
	s_waitcnt vmcnt(0)
	v_and_b32_e32 v2, 0xffff, v2
	s_delay_alu instid0(VALU_DEP_1) | instskip(SKIP_3) | instid1(VALU_DEP_1)
	v_lshlrev_b64 v[20:21], s10, v[2:3]
	s_add_u32 s10, s10, 8
	s_addc_u32 s11, s11, 0
	s_cmp_lg_u32 s14, s12
	v_or_b32_e32 v18, v20, v18
	s_delay_alu instid0(VALU_DEP_2)
	v_or_b32_e32 v19, v21, v19
	s_cbranch_scc1 .LBB6_980
.LBB6_981:                              ;   in Loop: Header=BB6_938 Depth=1
	s_mov_b32 s10, 0
	s_mov_b32 s15, 0
	s_branch .LBB6_983
.LBB6_982:                              ;   in Loop: Header=BB6_938 Depth=1
	s_mov_b32 s10, -1
                                        ; implicit-def: $vgpr18_vgpr19
                                        ; implicit-def: $sgpr15
.LBB6_983:                              ;   in Loop: Header=BB6_938 Depth=1
	s_delay_alu instid0(SALU_CYCLE_1)
	s_and_not1_b32 vcc_lo, exec_lo, s10
	s_cbranch_vccnz .LBB6_985
; %bb.984:                              ;   in Loop: Header=BB6_938 Depth=1
	global_load_b64 v[18:19], v3, s[0:1]
	s_add_i32 s15, s14, -8
	s_add_u32 s0, s0, 8
	s_addc_u32 s1, s1, 0
.LBB6_985:                              ;   in Loop: Header=BB6_938 Depth=1
	s_cmp_gt_u32 s15, 7
	s_cbranch_scc1 .LBB6_990
; %bb.986:                              ;   in Loop: Header=BB6_938 Depth=1
	v_mov_b32_e32 v20, 0
	v_mov_b32_e32 v21, 0
	s_cmp_eq_u32 s15, 0
	s_cbranch_scc1 .LBB6_989
; %bb.987:                              ;   in Loop: Header=BB6_938 Depth=1
	s_mov_b64 s[10:11], 0
	s_mov_b64 s[12:13], s[0:1]
.LBB6_988:                              ;   Parent Loop BB6_938 Depth=1
                                        ; =>  This Inner Loop Header: Depth=2
	global_load_u8 v2, v3, s[12:13]
	s_add_i32 s15, s15, -1
	s_waitcnt vmcnt(0)
	v_and_b32_e32 v2, 0xffff, v2
	s_delay_alu instid0(VALU_DEP_1)
	v_lshlrev_b64 v[22:23], s10, v[2:3]
	s_add_u32 s10, s10, 8
	s_addc_u32 s11, s11, 0
	s_add_u32 s12, s12, 1
	s_addc_u32 s13, s13, 0
	s_cmp_lg_u32 s15, 0
	v_or_b32_e32 v20, v22, v20
	v_or_b32_e32 v21, v23, v21
	s_cbranch_scc1 .LBB6_988
.LBB6_989:                              ;   in Loop: Header=BB6_938 Depth=1
	s_mov_b32 s10, 0
	s_branch .LBB6_991
.LBB6_990:                              ;   in Loop: Header=BB6_938 Depth=1
	s_mov_b32 s10, -1
.LBB6_991:                              ;   in Loop: Header=BB6_938 Depth=1
	s_delay_alu instid0(SALU_CYCLE_1)
	s_and_not1_b32 vcc_lo, exec_lo, s10
	s_cbranch_vccnz .LBB6_993
; %bb.992:                              ;   in Loop: Header=BB6_938 Depth=1
	global_load_b64 v[20:21], v3, s[0:1]
.LBB6_993:                              ;   in Loop: Header=BB6_938 Depth=1
	v_readfirstlane_b32 s0, v29
	v_mov_b32_e32 v26, 0
	v_mov_b32_e32 v27, 0
	s_delay_alu instid0(VALU_DEP_3) | instskip(NEXT) | instid1(VALU_DEP_1)
	v_cmp_eq_u32_e64 s0, s0, v29
	s_and_saveexec_b32 s1, s0
	s_cbranch_execz .LBB6_999
; %bb.994:                              ;   in Loop: Header=BB6_938 Depth=1
	global_load_b64 v[24:25], v3, s[2:3] offset:24 glc
	s_waitcnt vmcnt(0)
	buffer_gl1_inv
	buffer_gl0_inv
	s_clause 0x1
	global_load_b64 v[22:23], v3, s[2:3] offset:40
	global_load_b64 v[26:27], v3, s[2:3]
	s_mov_b32 s10, exec_lo
	s_waitcnt vmcnt(1)
	v_and_b32_e32 v2, v23, v25
	v_and_b32_e32 v22, v22, v24
	s_delay_alu instid0(VALU_DEP_2) | instskip(NEXT) | instid1(VALU_DEP_2)
	v_mul_lo_u32 v2, v2, 24
	v_mul_hi_u32 v23, v22, 24
	v_mul_lo_u32 v22, v22, 24
	s_delay_alu instid0(VALU_DEP_2) | instskip(SKIP_1) | instid1(VALU_DEP_2)
	v_add_nc_u32_e32 v2, v23, v2
	s_waitcnt vmcnt(0)
	v_add_co_u32 v22, vcc_lo, v26, v22
	s_delay_alu instid0(VALU_DEP_2)
	v_add_co_ci_u32_e32 v23, vcc_lo, v27, v2, vcc_lo
	global_load_b64 v[22:23], v[22:23], off glc
	s_waitcnt vmcnt(0)
	global_atomic_cmpswap_b64 v[26:27], v3, v[22:25], s[2:3] offset:24 glc
	s_waitcnt vmcnt(0)
	buffer_gl1_inv
	buffer_gl0_inv
	v_cmpx_ne_u64_e64 v[26:27], v[24:25]
	s_cbranch_execz .LBB6_998
; %bb.995:                              ;   in Loop: Header=BB6_938 Depth=1
	s_mov_b32 s11, 0
.LBB6_996:                              ;   Parent Loop BB6_938 Depth=1
                                        ; =>  This Inner Loop Header: Depth=2
	s_sleep 1
	s_clause 0x1
	global_load_b64 v[22:23], v3, s[2:3] offset:40
	global_load_b64 v[30:31], v3, s[2:3]
	v_dual_mov_b32 v24, v26 :: v_dual_mov_b32 v25, v27
	s_waitcnt vmcnt(1)
	s_delay_alu instid0(VALU_DEP_1) | instskip(SKIP_1) | instid1(VALU_DEP_1)
	v_and_b32_e32 v2, v22, v24
	s_waitcnt vmcnt(0)
	v_mad_u64_u32 v[26:27], null, v2, 24, v[30:31]
	v_and_b32_e32 v30, v23, v25
	s_delay_alu instid0(VALU_DEP_2) | instskip(NEXT) | instid1(VALU_DEP_1)
	v_mov_b32_e32 v2, v27
	v_mad_u64_u32 v[22:23], null, v30, 24, v[2:3]
	s_delay_alu instid0(VALU_DEP_1)
	v_mov_b32_e32 v27, v22
	global_load_b64 v[22:23], v[26:27], off glc
	s_waitcnt vmcnt(0)
	global_atomic_cmpswap_b64 v[26:27], v3, v[22:25], s[2:3] offset:24 glc
	s_waitcnt vmcnt(0)
	buffer_gl1_inv
	buffer_gl0_inv
	v_cmp_eq_u64_e32 vcc_lo, v[26:27], v[24:25]
	s_or_b32 s11, vcc_lo, s11
	s_delay_alu instid0(SALU_CYCLE_1)
	s_and_not1_b32 exec_lo, exec_lo, s11
	s_cbranch_execnz .LBB6_996
; %bb.997:                              ;   in Loop: Header=BB6_938 Depth=1
	s_or_b32 exec_lo, exec_lo, s11
.LBB6_998:                              ;   in Loop: Header=BB6_938 Depth=1
	s_delay_alu instid0(SALU_CYCLE_1)
	s_or_b32 exec_lo, exec_lo, s10
.LBB6_999:                              ;   in Loop: Header=BB6_938 Depth=1
	s_delay_alu instid0(SALU_CYCLE_1)
	s_or_b32 exec_lo, exec_lo, s1
	s_clause 0x1
	global_load_b64 v[30:31], v3, s[2:3] offset:40
	global_load_b128 v[22:25], v3, s[2:3]
	v_readfirstlane_b32 s10, v26
	v_readfirstlane_b32 s11, v27
	s_mov_b32 s1, exec_lo
	s_waitcnt vmcnt(1)
	v_readfirstlane_b32 s12, v30
	v_readfirstlane_b32 s13, v31
	s_delay_alu instid0(VALU_DEP_1) | instskip(NEXT) | instid1(SALU_CYCLE_1)
	s_and_b64 s[12:13], s[10:11], s[12:13]
	s_mul_i32 s14, s13, 24
	s_mul_hi_u32 s15, s12, 24
	s_mul_i32 s16, s12, 24
	s_add_i32 s15, s15, s14
	s_waitcnt vmcnt(0)
	v_add_co_u32 v26, vcc_lo, v22, s16
	v_add_co_ci_u32_e32 v27, vcc_lo, s15, v23, vcc_lo
	s_and_saveexec_b32 s14, s0
	s_cbranch_execz .LBB6_1001
; %bb.1000:                             ;   in Loop: Header=BB6_938 Depth=1
	v_mov_b32_e32 v2, s1
	global_store_b128 v[26:27], v[2:5], off offset:8
.LBB6_1001:                             ;   in Loop: Header=BB6_938 Depth=1
	s_or_b32 exec_lo, exec_lo, s14
	s_lshl_b64 s[12:13], s[12:13], 12
	v_or_b32_e32 v2, 2, v6
	v_add_co_u32 v24, vcc_lo, v24, s12
	v_add_co_ci_u32_e32 v25, vcc_lo, s13, v25, vcc_lo
	v_cmp_gt_u64_e64 vcc_lo, s[6:7], 56
	s_lshl_b32 s1, s8, 2
	s_delay_alu instid0(VALU_DEP_3) | instskip(SKIP_4) | instid1(VALU_DEP_1)
	v_readfirstlane_b32 s12, v24
	s_add_i32 s1, s1, 28
	v_readfirstlane_b32 s13, v25
	s_and_b32 s1, s1, 0x1e0
	v_cndmask_b32_e32 v2, v2, v6, vcc_lo
	v_and_or_b32 v6, 0xffffff1f, v2, s1
	s_clause 0x3
	global_store_b128 v28, v[6:9], s[12:13]
	global_store_b128 v28, v[10:13], s[12:13] offset:16
	global_store_b128 v28, v[14:17], s[12:13] offset:32
	;; [unrolled: 1-line block ×3, first 2 shown]
	s_and_saveexec_b32 s1, s0
	s_cbranch_execz .LBB6_1009
; %bb.1002:                             ;   in Loop: Header=BB6_938 Depth=1
	s_clause 0x1
	global_load_b64 v[14:15], v3, s[2:3] offset:32 glc
	global_load_b64 v[6:7], v3, s[2:3] offset:40
	v_dual_mov_b32 v12, s10 :: v_dual_mov_b32 v13, s11
	s_waitcnt vmcnt(0)
	v_readfirstlane_b32 s12, v6
	v_readfirstlane_b32 s13, v7
	s_delay_alu instid0(VALU_DEP_1) | instskip(NEXT) | instid1(SALU_CYCLE_1)
	s_and_b64 s[12:13], s[12:13], s[10:11]
	s_mul_i32 s13, s13, 24
	s_mul_hi_u32 s14, s12, 24
	s_mul_i32 s12, s12, 24
	s_add_i32 s14, s14, s13
	v_add_co_u32 v10, vcc_lo, v22, s12
	v_add_co_ci_u32_e32 v11, vcc_lo, s14, v23, vcc_lo
	s_mov_b32 s12, exec_lo
	global_store_b64 v[10:11], v[14:15], off
	s_waitcnt_vscnt null, 0x0
	global_atomic_cmpswap_b64 v[8:9], v3, v[12:15], s[2:3] offset:32 glc
	s_waitcnt vmcnt(0)
	v_cmpx_ne_u64_e64 v[8:9], v[14:15]
	s_cbranch_execz .LBB6_1005
; %bb.1003:                             ;   in Loop: Header=BB6_938 Depth=1
	s_mov_b32 s13, 0
.LBB6_1004:                             ;   Parent Loop BB6_938 Depth=1
                                        ; =>  This Inner Loop Header: Depth=2
	v_dual_mov_b32 v6, s10 :: v_dual_mov_b32 v7, s11
	s_sleep 1
	global_store_b64 v[10:11], v[8:9], off
	s_waitcnt_vscnt null, 0x0
	global_atomic_cmpswap_b64 v[6:7], v3, v[6:9], s[2:3] offset:32 glc
	s_waitcnt vmcnt(0)
	v_cmp_eq_u64_e32 vcc_lo, v[6:7], v[8:9]
	v_dual_mov_b32 v9, v7 :: v_dual_mov_b32 v8, v6
	s_or_b32 s13, vcc_lo, s13
	s_delay_alu instid0(SALU_CYCLE_1)
	s_and_not1_b32 exec_lo, exec_lo, s13
	s_cbranch_execnz .LBB6_1004
.LBB6_1005:                             ;   in Loop: Header=BB6_938 Depth=1
	s_or_b32 exec_lo, exec_lo, s12
	global_load_b64 v[6:7], v3, s[2:3] offset:16
	s_mov_b32 s13, exec_lo
	s_mov_b32 s12, exec_lo
	v_mbcnt_lo_u32_b32 v2, s13, 0
	s_delay_alu instid0(VALU_DEP_1)
	v_cmpx_eq_u32_e32 0, v2
	s_cbranch_execz .LBB6_1007
; %bb.1006:                             ;   in Loop: Header=BB6_938 Depth=1
	s_bcnt1_i32_b32 s13, s13
	s_delay_alu instid0(SALU_CYCLE_1)
	v_mov_b32_e32 v2, s13
	s_waitcnt vmcnt(0)
	global_atomic_add_u64 v[6:7], v[2:3], off offset:8
.LBB6_1007:                             ;   in Loop: Header=BB6_938 Depth=1
	s_or_b32 exec_lo, exec_lo, s12
	s_waitcnt vmcnt(0)
	global_load_b64 v[8:9], v[6:7], off offset:16
	s_waitcnt vmcnt(0)
	v_cmp_eq_u64_e32 vcc_lo, 0, v[8:9]
	s_cbranch_vccnz .LBB6_1009
; %bb.1008:                             ;   in Loop: Header=BB6_938 Depth=1
	global_load_b32 v2, v[6:7], off offset:24
	s_waitcnt vmcnt(0)
	v_and_b32_e32 v6, 0xffffff, v2
	s_waitcnt_vscnt null, 0x0
	global_store_b64 v[8:9], v[2:3], off
	v_readfirstlane_b32 m0, v6
	s_sendmsg sendmsg(MSG_INTERRUPT)
.LBB6_1009:                             ;   in Loop: Header=BB6_938 Depth=1
	s_or_b32 exec_lo, exec_lo, s1
	v_add_co_u32 v6, vcc_lo, v24, v28
	v_add_co_ci_u32_e32 v7, vcc_lo, 0, v25, vcc_lo
	s_branch .LBB6_1011
.LBB6_1010:                             ;   in Loop: Header=BB6_938 Depth=1
	s_branch .LBB6_1015
.LBB6_1011:                             ;   Parent Loop BB6_938 Depth=1
                                        ; =>  This Inner Loop Header: Depth=2
	v_mov_b32_e32 v2, 1
	s_and_saveexec_b32 s1, s0
	s_cbranch_execz .LBB6_1013
; %bb.1012:                             ;   in Loop: Header=BB6_1011 Depth=2
	global_load_b32 v2, v[26:27], off offset:20 glc
	s_waitcnt vmcnt(0)
	buffer_gl1_inv
	buffer_gl0_inv
	v_and_b32_e32 v2, 1, v2
.LBB6_1013:                             ;   in Loop: Header=BB6_1011 Depth=2
	s_or_b32 exec_lo, exec_lo, s1
	s_delay_alu instid0(VALU_DEP_1) | instskip(NEXT) | instid1(VALU_DEP_1)
	v_readfirstlane_b32 s1, v2
	s_cmp_eq_u32 s1, 0
	s_cbranch_scc1 .LBB6_1010
; %bb.1014:                             ;   in Loop: Header=BB6_1011 Depth=2
	s_sleep 1
	s_cbranch_execnz .LBB6_1011
.LBB6_1015:                             ;   in Loop: Header=BB6_938 Depth=1
	global_load_b128 v[6:9], v[6:7], off
	s_and_saveexec_b32 s1, s0
	s_cbranch_execz .LBB6_937
; %bb.1016:                             ;   in Loop: Header=BB6_938 Depth=1
	s_clause 0x2
	global_load_b64 v[10:11], v3, s[2:3] offset:40
	global_load_b64 v[14:15], v3, s[2:3] offset:24 glc
	global_load_b64 v[12:13], v3, s[2:3]
	s_waitcnt vmcnt(2)
	v_add_co_u32 v2, vcc_lo, v10, 1
	v_add_co_ci_u32_e32 v16, vcc_lo, 0, v11, vcc_lo
	s_delay_alu instid0(VALU_DEP_2) | instskip(NEXT) | instid1(VALU_DEP_2)
	v_add_co_u32 v8, vcc_lo, v2, s10
	v_add_co_ci_u32_e32 v9, vcc_lo, s11, v16, vcc_lo
	s_delay_alu instid0(VALU_DEP_1) | instskip(SKIP_1) | instid1(VALU_DEP_1)
	v_cmp_eq_u64_e32 vcc_lo, 0, v[8:9]
	v_dual_cndmask_b32 v9, v9, v16 :: v_dual_cndmask_b32 v8, v8, v2
	v_and_b32_e32 v2, v9, v11
	s_delay_alu instid0(VALU_DEP_2) | instskip(NEXT) | instid1(VALU_DEP_2)
	v_and_b32_e32 v10, v8, v10
	v_mul_lo_u32 v2, v2, 24
	s_delay_alu instid0(VALU_DEP_2) | instskip(SKIP_1) | instid1(VALU_DEP_2)
	v_mul_hi_u32 v11, v10, 24
	v_mul_lo_u32 v10, v10, 24
	v_add_nc_u32_e32 v2, v11, v2
	s_waitcnt vmcnt(1)
	v_mov_b32_e32 v11, v15
	s_waitcnt vmcnt(0)
	s_delay_alu instid0(VALU_DEP_3)
	v_add_co_u32 v12, vcc_lo, v12, v10
	v_mov_b32_e32 v10, v14
	v_add_co_ci_u32_e32 v13, vcc_lo, v13, v2, vcc_lo
	global_store_b64 v[12:13], v[14:15], off
	s_waitcnt_vscnt null, 0x0
	global_atomic_cmpswap_b64 v[10:11], v3, v[8:11], s[2:3] offset:24 glc
	s_waitcnt vmcnt(0)
	v_cmp_ne_u64_e32 vcc_lo, v[10:11], v[14:15]
	s_and_b32 exec_lo, exec_lo, vcc_lo
	s_cbranch_execz .LBB6_937
; %bb.1017:                             ;   in Loop: Header=BB6_938 Depth=1
	s_mov_b32 s0, 0
.LBB6_1018:                             ;   Parent Loop BB6_938 Depth=1
                                        ; =>  This Inner Loop Header: Depth=2
	s_sleep 1
	global_store_b64 v[12:13], v[10:11], off
	s_waitcnt_vscnt null, 0x0
	global_atomic_cmpswap_b64 v[14:15], v3, v[8:11], s[2:3] offset:24 glc
	s_waitcnt vmcnt(0)
	v_cmp_eq_u64_e32 vcc_lo, v[14:15], v[10:11]
	v_dual_mov_b32 v10, v14 :: v_dual_mov_b32 v11, v15
	s_or_b32 s0, vcc_lo, s0
	s_delay_alu instid0(SALU_CYCLE_1)
	s_and_not1_b32 exec_lo, exec_lo, s0
	s_cbranch_execnz .LBB6_1018
	s_branch .LBB6_937
.LBB6_1019:
	s_mov_b32 s0, 0
	s_branch .LBB6_1021
.LBB6_1020:
	s_mov_b32 s0, -1
.LBB6_1021:
	s_delay_alu instid0(SALU_CYCLE_1)
	s_and_b32 vcc_lo, exec_lo, s0
	s_cbranch_vccz .LBB6_1049
; %bb.1022:
	v_readfirstlane_b32 s0, v29
	s_waitcnt vmcnt(0)
	v_mov_b32_e32 v8, 0
	v_mov_b32_e32 v9, 0
	s_delay_alu instid0(VALU_DEP_3) | instskip(NEXT) | instid1(VALU_DEP_1)
	v_cmp_eq_u32_e64 s0, s0, v29
	s_and_saveexec_b32 s1, s0
	s_cbranch_execz .LBB6_1028
; %bb.1023:
	v_mov_b32_e32 v2, 0
	s_mov_b32 s4, exec_lo
	global_load_b64 v[5:6], v2, s[2:3] offset:24 glc
	s_waitcnt vmcnt(0)
	buffer_gl1_inv
	buffer_gl0_inv
	s_clause 0x1
	global_load_b64 v[3:4], v2, s[2:3] offset:40
	global_load_b64 v[7:8], v2, s[2:3]
	s_waitcnt vmcnt(1)
	v_and_b32_e32 v3, v3, v5
	v_and_b32_e32 v4, v4, v6
	s_delay_alu instid0(VALU_DEP_2) | instskip(NEXT) | instid1(VALU_DEP_2)
	v_mul_hi_u32 v9, v3, 24
	v_mul_lo_u32 v4, v4, 24
	v_mul_lo_u32 v3, v3, 24
	s_delay_alu instid0(VALU_DEP_2) | instskip(SKIP_1) | instid1(VALU_DEP_2)
	v_add_nc_u32_e32 v4, v9, v4
	s_waitcnt vmcnt(0)
	v_add_co_u32 v3, vcc_lo, v7, v3
	s_delay_alu instid0(VALU_DEP_2)
	v_add_co_ci_u32_e32 v4, vcc_lo, v8, v4, vcc_lo
	global_load_b64 v[3:4], v[3:4], off glc
	s_waitcnt vmcnt(0)
	global_atomic_cmpswap_b64 v[8:9], v2, v[3:6], s[2:3] offset:24 glc
	s_waitcnt vmcnt(0)
	buffer_gl1_inv
	buffer_gl0_inv
	v_cmpx_ne_u64_e64 v[8:9], v[5:6]
	s_cbranch_execz .LBB6_1027
; %bb.1024:
	s_mov_b32 s5, 0
.LBB6_1025:                             ; =>This Inner Loop Header: Depth=1
	s_sleep 1
	s_clause 0x1
	global_load_b64 v[3:4], v2, s[2:3] offset:40
	global_load_b64 v[10:11], v2, s[2:3]
	v_dual_mov_b32 v5, v8 :: v_dual_mov_b32 v6, v9
	s_waitcnt vmcnt(1)
	s_delay_alu instid0(VALU_DEP_1) | instskip(NEXT) | instid1(VALU_DEP_2)
	v_and_b32_e32 v3, v3, v5
	v_and_b32_e32 v4, v4, v6
	s_waitcnt vmcnt(0)
	s_delay_alu instid0(VALU_DEP_2) | instskip(NEXT) | instid1(VALU_DEP_1)
	v_mad_u64_u32 v[7:8], null, v3, 24, v[10:11]
	v_mov_b32_e32 v3, v8
	s_delay_alu instid0(VALU_DEP_1)
	v_mad_u64_u32 v[8:9], null, v4, 24, v[3:4]
	global_load_b64 v[3:4], v[7:8], off glc
	s_waitcnt vmcnt(0)
	global_atomic_cmpswap_b64 v[8:9], v2, v[3:6], s[2:3] offset:24 glc
	s_waitcnt vmcnt(0)
	buffer_gl1_inv
	buffer_gl0_inv
	v_cmp_eq_u64_e32 vcc_lo, v[8:9], v[5:6]
	s_or_b32 s5, vcc_lo, s5
	s_delay_alu instid0(SALU_CYCLE_1)
	s_and_not1_b32 exec_lo, exec_lo, s5
	s_cbranch_execnz .LBB6_1025
; %bb.1026:
	s_or_b32 exec_lo, exec_lo, s5
.LBB6_1027:
	s_delay_alu instid0(SALU_CYCLE_1)
	s_or_b32 exec_lo, exec_lo, s4
.LBB6_1028:
	s_delay_alu instid0(SALU_CYCLE_1)
	s_or_b32 exec_lo, exec_lo, s1
	v_mov_b32_e32 v2, 0
	v_readfirstlane_b32 s4, v8
	v_readfirstlane_b32 s5, v9
	s_mov_b32 s1, exec_lo
	s_clause 0x1
	global_load_b64 v[10:11], v2, s[2:3] offset:40
	global_load_b128 v[4:7], v2, s[2:3]
	s_waitcnt vmcnt(1)
	v_readfirstlane_b32 s6, v10
	v_readfirstlane_b32 s7, v11
	s_delay_alu instid0(VALU_DEP_1) | instskip(NEXT) | instid1(SALU_CYCLE_1)
	s_and_b64 s[6:7], s[4:5], s[6:7]
	s_mul_i32 s8, s7, 24
	s_mul_hi_u32 s9, s6, 24
	s_mul_i32 s10, s6, 24
	s_add_i32 s9, s9, s8
	s_waitcnt vmcnt(0)
	v_add_co_u32 v8, vcc_lo, v4, s10
	v_add_co_ci_u32_e32 v9, vcc_lo, s9, v5, vcc_lo
	s_and_saveexec_b32 s8, s0
	s_cbranch_execz .LBB6_1030
; %bb.1029:
	v_dual_mov_b32 v10, s1 :: v_dual_mov_b32 v11, v2
	v_dual_mov_b32 v12, 2 :: v_dual_mov_b32 v13, 1
	global_store_b128 v[8:9], v[10:13], off offset:8
.LBB6_1030:
	s_or_b32 exec_lo, exec_lo, s8
	s_lshl_b64 s[6:7], s[6:7], 12
	s_mov_b32 s8, 0
	v_add_co_u32 v6, vcc_lo, v6, s6
	v_add_co_ci_u32_e32 v7, vcc_lo, s7, v7, vcc_lo
	s_mov_b32 s11, s8
	s_mov_b32 s9, s8
	;; [unrolled: 1-line block ×3, first 2 shown]
	v_and_or_b32 v0, 0xffffff1d, v0, 34
	v_mov_b32_e32 v3, v2
	v_readfirstlane_b32 s6, v6
	v_readfirstlane_b32 s7, v7
	v_dual_mov_b32 v13, s11 :: v_dual_mov_b32 v10, s8
	v_dual_mov_b32 v12, s10 :: v_dual_mov_b32 v11, s9
	s_clause 0x3
	global_store_b128 v28, v[0:3], s[6:7]
	global_store_b128 v28, v[10:13], s[6:7] offset:16
	global_store_b128 v28, v[10:13], s[6:7] offset:32
	;; [unrolled: 1-line block ×3, first 2 shown]
	s_and_saveexec_b32 s1, s0
	s_cbranch_execz .LBB6_1038
; %bb.1031:
	v_dual_mov_b32 v6, 0 :: v_dual_mov_b32 v11, s5
	v_mov_b32_e32 v10, s4
	s_clause 0x1
	global_load_b64 v[12:13], v6, s[2:3] offset:32 glc
	global_load_b64 v[0:1], v6, s[2:3] offset:40
	s_waitcnt vmcnt(0)
	v_readfirstlane_b32 s6, v0
	v_readfirstlane_b32 s7, v1
	s_delay_alu instid0(VALU_DEP_1) | instskip(NEXT) | instid1(SALU_CYCLE_1)
	s_and_b64 s[6:7], s[6:7], s[4:5]
	s_mul_i32 s7, s7, 24
	s_mul_hi_u32 s8, s6, 24
	s_mul_i32 s6, s6, 24
	s_add_i32 s8, s8, s7
	v_add_co_u32 v4, vcc_lo, v4, s6
	v_add_co_ci_u32_e32 v5, vcc_lo, s8, v5, vcc_lo
	s_mov_b32 s6, exec_lo
	global_store_b64 v[4:5], v[12:13], off
	s_waitcnt_vscnt null, 0x0
	global_atomic_cmpswap_b64 v[2:3], v6, v[10:13], s[2:3] offset:32 glc
	s_waitcnt vmcnt(0)
	v_cmpx_ne_u64_e64 v[2:3], v[12:13]
	s_cbranch_execz .LBB6_1034
; %bb.1032:
	s_mov_b32 s7, 0
.LBB6_1033:                             ; =>This Inner Loop Header: Depth=1
	v_dual_mov_b32 v0, s4 :: v_dual_mov_b32 v1, s5
	s_sleep 1
	global_store_b64 v[4:5], v[2:3], off
	s_waitcnt_vscnt null, 0x0
	global_atomic_cmpswap_b64 v[0:1], v6, v[0:3], s[2:3] offset:32 glc
	s_waitcnt vmcnt(0)
	v_cmp_eq_u64_e32 vcc_lo, v[0:1], v[2:3]
	v_dual_mov_b32 v3, v1 :: v_dual_mov_b32 v2, v0
	s_or_b32 s7, vcc_lo, s7
	s_delay_alu instid0(SALU_CYCLE_1)
	s_and_not1_b32 exec_lo, exec_lo, s7
	s_cbranch_execnz .LBB6_1033
.LBB6_1034:
	s_or_b32 exec_lo, exec_lo, s6
	v_mov_b32_e32 v3, 0
	s_mov_b32 s7, exec_lo
	s_mov_b32 s6, exec_lo
	v_mbcnt_lo_u32_b32 v2, s7, 0
	global_load_b64 v[0:1], v3, s[2:3] offset:16
	v_cmpx_eq_u32_e32 0, v2
	s_cbranch_execz .LBB6_1036
; %bb.1035:
	s_bcnt1_i32_b32 s7, s7
	s_delay_alu instid0(SALU_CYCLE_1)
	v_mov_b32_e32 v2, s7
	s_waitcnt vmcnt(0)
	global_atomic_add_u64 v[0:1], v[2:3], off offset:8
.LBB6_1036:
	s_or_b32 exec_lo, exec_lo, s6
	s_waitcnt vmcnt(0)
	global_load_b64 v[2:3], v[0:1], off offset:16
	s_waitcnt vmcnt(0)
	v_cmp_eq_u64_e32 vcc_lo, 0, v[2:3]
	s_cbranch_vccnz .LBB6_1038
; %bb.1037:
	global_load_b32 v0, v[0:1], off offset:24
	s_waitcnt vmcnt(0)
	v_dual_mov_b32 v1, 0 :: v_dual_and_b32 v4, 0xffffff, v0
	s_waitcnt_vscnt null, 0x0
	global_store_b64 v[2:3], v[0:1], off
	v_readfirstlane_b32 m0, v4
	s_sendmsg sendmsg(MSG_INTERRUPT)
.LBB6_1038:
	s_or_b32 exec_lo, exec_lo, s1
	s_branch .LBB6_1040
.LBB6_1039:
	s_branch .LBB6_1044
.LBB6_1040:                             ; =>This Inner Loop Header: Depth=1
	v_mov_b32_e32 v0, 1
	s_and_saveexec_b32 s1, s0
	s_cbranch_execz .LBB6_1042
; %bb.1041:                             ;   in Loop: Header=BB6_1040 Depth=1
	global_load_b32 v0, v[8:9], off offset:20 glc
	s_waitcnt vmcnt(0)
	buffer_gl1_inv
	buffer_gl0_inv
	v_and_b32_e32 v0, 1, v0
.LBB6_1042:                             ;   in Loop: Header=BB6_1040 Depth=1
	s_or_b32 exec_lo, exec_lo, s1
	s_delay_alu instid0(VALU_DEP_1) | instskip(NEXT) | instid1(VALU_DEP_1)
	v_readfirstlane_b32 s1, v0
	s_cmp_eq_u32 s1, 0
	s_cbranch_scc1 .LBB6_1039
; %bb.1043:                             ;   in Loop: Header=BB6_1040 Depth=1
	s_sleep 1
	s_cbranch_execnz .LBB6_1040
.LBB6_1044:
	s_and_saveexec_b32 s1, s0
	s_cbranch_execz .LBB6_1048
; %bb.1045:
	v_mov_b32_e32 v6, 0
	s_clause 0x2
	global_load_b64 v[2:3], v6, s[2:3] offset:40
	global_load_b64 v[7:8], v6, s[2:3] offset:24 glc
	global_load_b64 v[4:5], v6, s[2:3]
	s_waitcnt vmcnt(2)
	v_add_co_u32 v9, vcc_lo, v2, 1
	v_add_co_ci_u32_e32 v10, vcc_lo, 0, v3, vcc_lo
	s_delay_alu instid0(VALU_DEP_2) | instskip(NEXT) | instid1(VALU_DEP_2)
	v_add_co_u32 v0, vcc_lo, v9, s4
	v_add_co_ci_u32_e32 v1, vcc_lo, s5, v10, vcc_lo
	s_delay_alu instid0(VALU_DEP_1) | instskip(SKIP_1) | instid1(VALU_DEP_1)
	v_cmp_eq_u64_e32 vcc_lo, 0, v[0:1]
	v_dual_cndmask_b32 v1, v1, v10 :: v_dual_cndmask_b32 v0, v0, v9
	v_and_b32_e32 v3, v1, v3
	s_delay_alu instid0(VALU_DEP_2) | instskip(NEXT) | instid1(VALU_DEP_2)
	v_and_b32_e32 v2, v0, v2
	v_mul_lo_u32 v3, v3, 24
	s_delay_alu instid0(VALU_DEP_2) | instskip(SKIP_1) | instid1(VALU_DEP_2)
	v_mul_hi_u32 v9, v2, 24
	v_mul_lo_u32 v2, v2, 24
	v_add_nc_u32_e32 v3, v9, v3
	s_waitcnt vmcnt(0)
	s_delay_alu instid0(VALU_DEP_2) | instskip(SKIP_1) | instid1(VALU_DEP_3)
	v_add_co_u32 v4, vcc_lo, v4, v2
	v_mov_b32_e32 v2, v7
	v_add_co_ci_u32_e32 v5, vcc_lo, v5, v3, vcc_lo
	v_mov_b32_e32 v3, v8
	global_store_b64 v[4:5], v[7:8], off
	s_waitcnt_vscnt null, 0x0
	global_atomic_cmpswap_b64 v[2:3], v6, v[0:3], s[2:3] offset:24 glc
	s_waitcnt vmcnt(0)
	v_cmp_ne_u64_e32 vcc_lo, v[2:3], v[7:8]
	s_and_b32 exec_lo, exec_lo, vcc_lo
	s_cbranch_execz .LBB6_1048
; %bb.1046:
	s_mov_b32 s0, 0
.LBB6_1047:                             ; =>This Inner Loop Header: Depth=1
	s_sleep 1
	global_store_b64 v[4:5], v[2:3], off
	s_waitcnt_vscnt null, 0x0
	global_atomic_cmpswap_b64 v[7:8], v6, v[0:3], s[2:3] offset:24 glc
	s_waitcnt vmcnt(0)
	v_cmp_eq_u64_e32 vcc_lo, v[7:8], v[2:3]
	v_dual_mov_b32 v2, v7 :: v_dual_mov_b32 v3, v8
	s_or_b32 s0, vcc_lo, s0
	s_delay_alu instid0(SALU_CYCLE_1)
	s_and_not1_b32 exec_lo, exec_lo, s0
	s_cbranch_execnz .LBB6_1047
.LBB6_1048:
	s_or_b32 exec_lo, exec_lo, s1
.LBB6_1049:
	s_getpc_b64 s[0:1]
	s_add_u32 s0, s0, .str.29@rel32@lo+4
	s_addc_u32 s1, s1, .str.29@rel32@hi+12
	s_getpc_b64 s[2:3]
	s_add_u32 s2, s2, .str.19@rel32@lo+4
	s_addc_u32 s3, s3, .str.19@rel32@hi+12
	s_getpc_b64 s[4:5]
	s_add_u32 s4, s4, __PRETTY_FUNCTION__._ZN7VecsMemIjLi8192EE5fetchEi@rel32@lo+4
	s_addc_u32 s5, s5, __PRETTY_FUNCTION__._ZN7VecsMemIjLi8192EE5fetchEi@rel32@hi+12
	s_waitcnt vmcnt(0)
	v_dual_mov_b32 v0, s0 :: v_dual_mov_b32 v1, s1
	v_dual_mov_b32 v2, s2 :: v_dual_mov_b32 v3, s3
	;; [unrolled: 1-line block ×3, first 2 shown]
	v_mov_b32_e32 v6, s5
	s_mov_b64 s[8:9], s[44:45]
	s_getpc_b64 s[6:7]
	s_add_u32 s6, s6, __assert_fail@rel32@lo+4
	s_addc_u32 s7, s7, __assert_fail@rel32@hi+12
	s_delay_alu instid0(SALU_CYCLE_1)
	s_swappc_b64 s[30:31], s[6:7]
	s_or_b32 s0, s49, exec_lo
.LBB6_1050:
	s_or_b32 exec_lo, exec_lo, s36
	s_delay_alu instid0(SALU_CYCLE_1)
	s_and_not1_b32 s1, s49, exec_lo
	s_and_b32 s0, s0, exec_lo
	s_or_not1_b32 s2, s17, exec_lo
	s_or_b32 s51, s1, s0
.LBB6_1051:
	s_or_b32 exec_lo, exec_lo, s35
	s_mov_b32 s0, 0
	s_mov_b32 s1, s41
                                        ; implicit-def: $vgpr40
	s_and_saveexec_b32 s52, s2
	s_cbranch_execz .LBB6_1444
; %bb.1052:
	s_mov_b32 s1, 0
	s_mov_b32 s2, exec_lo
	scratch_store_b64 off, v[67:68], s33 offset:120
	v_cmpx_lt_i32_e32 0, v66
	s_cbranch_execz .LBB6_1055
; %bb.1053:
	s_add_i32 s0, s33, 0x60
	v_not_b32_e32 v0, v69
	v_mov_b32_e32 v1, s0
	s_mov_b32 s3, 0
	s_set_inst_prefetch_distance 0x1
.LBB6_1054:                             ; =>This Inner Loop Header: Depth=1
	flat_load_b32 v4, v[62:63]
	s_add_i32 s0, s33, 0x70
	s_add_i32 s3, s3, 1
	s_waitcnt vmcnt(0) lgkmcnt(0)
	v_and_b32_e32 v2, v4, v69
	s_delay_alu instid0(VALU_DEP_1)
	v_cmp_eq_u32_e32 vcc_lo, 0, v2
	v_cndmask_b32_e64 v5, v1, s0, vcc_lo
	v_cndmask_b32_e64 v8, v0, -1, vcc_lo
	v_dual_cndmask_b32 v6, v65, v68 :: v_dual_cndmask_b32 v7, v64, v67
	v_add_co_u32 v62, s0, v62, 4
	scratch_load_b32 v2, v5, off offset:4
	v_and_b32_e32 v8, v8, v4
	v_add_co_ci_u32_e64 v63, s0, 0, v63, s0
	s_waitcnt vmcnt(0)
	v_ashrrev_i32_e32 v3, 31, v2
	v_add_nc_u32_e32 v9, 1, v2
	s_delay_alu instid0(VALU_DEP_2) | instskip(NEXT) | instid1(VALU_DEP_1)
	v_lshlrev_b64 v[3:4], 2, v[2:3]
	v_add_co_u32 v2, vcc_lo, v7, v3
	s_delay_alu instid0(VALU_DEP_2)
	v_add_co_ci_u32_e32 v3, vcc_lo, v6, v4, vcc_lo
	scratch_store_b32 v5, v9, off offset:4
	flat_store_b32 v[2:3], v8
	flat_load_b32 v2, v[60:61] offset:4
	s_waitcnt vmcnt(0) lgkmcnt(0)
	v_cmp_ge_i32_e32 vcc_lo, s3, v2
	s_or_b32 s1, vcc_lo, s1
	s_delay_alu instid0(SALU_CYCLE_1)
	s_and_not1_b32 exec_lo, exec_lo, s1
	s_cbranch_execnz .LBB6_1054
.LBB6_1055:
	s_set_inst_prefetch_distance 0x2
	v_writelane_b32 v56, s27, 0
	v_writelane_b32 v56, s26, 1
	;; [unrolled: 1-line block ×13, first 2 shown]
	s_or_b32 exec_lo, exec_lo, s2
	flat_load_b32 v0, v[53:54]
	v_dual_mov_b32 v1, 0 :: v_dual_mov_b32 v2, v41
	v_dual_mov_b32 v3, v44 :: v_dual_mov_b32 v4, v45
	s_mov_b64 s[8:9], s[44:45]
	s_mov_b64 s[54:55], src_private_base
	s_getpc_b64 s[0:1]
	s_add_u32 s0, s0, _ZN3sop23sopFactorTrivialCubeRecEjiiPN8subgUtil4SubgILi256EEE@rel32@lo+4
	s_addc_u32 s1, s1, _ZN3sop23sopFactorTrivialCubeRecEjiiPN8subgUtil4SubgILi256EEE@rel32@hi+12
	s_delay_alu instid0(SALU_CYCLE_1)
	s_swappc_b64 s[30:31], s[0:1]
	s_getpc_b64 s[0:1]
	s_add_u32 s0, s0, _ZN3sop12sopFactorRecEPNS_3SopEiP7VecsMemIjLi8192EEPN8subgUtil4SubgILi256EEE@rel32@lo+4
	s_addc_u32 s1, s1, _ZN3sop12sopFactorRecEPNS_3SopEiP7VecsMemIjLi8192EEPN8subgUtil4SubgILi256EEE@rel32@hi+12
	s_add_i32 s2, s33, 0x60
	v_dual_mov_b32 v42, v0 :: v_dual_mov_b32 v1, s55
	v_dual_mov_b32 v0, s2 :: v_dual_mov_b32 v3, v58
	;; [unrolled: 1-line block ×3, first 2 shown]
	v_mov_b32_e32 v4, v59
	v_mov_b32_e32 v6, v45
	s_mov_b64 s[8:9], s[44:45]
	s_swappc_b64 s[30:31], s[0:1]
	flat_load_b32 v1, v[44:45]
	s_mov_b32 s35, s51
	s_mov_b32 s0, exec_lo
	s_waitcnt vmcnt(0) lgkmcnt(0)
	v_cmpx_lt_i32_e32 0xff, v1
	s_xor_b32 s17, exec_lo, s0
	s_cbranch_execz .LBB6_1057
; %bb.1056:
	s_getpc_b64 s[0:1]
	s_add_u32 s0, s0, .str.43@rel32@lo+4
	s_addc_u32 s1, s1, .str.43@rel32@hi+12
	s_getpc_b64 s[2:3]
	s_add_u32 s2, s2, .str.44@rel32@lo+4
	s_addc_u32 s3, s3, .str.44@rel32@hi+12
	s_getpc_b64 s[4:5]
	s_add_u32 s4, s4, __PRETTY_FUNCTION__._ZN8subgUtil4SubgILi256EE10addNodeAndEii@rel32@lo+4
	s_addc_u32 s5, s5, __PRETTY_FUNCTION__._ZN8subgUtil4SubgILi256EE10addNodeAndEii@rel32@hi+12
	v_dual_mov_b32 v0, s0 :: v_dual_mov_b32 v1, s1
	v_dual_mov_b32 v2, s2 :: v_dual_mov_b32 v3, s3
	v_dual_mov_b32 v4, 60 :: v_dual_mov_b32 v5, s4
	v_mov_b32_e32 v6, s5
	s_mov_b64 s[8:9], s[44:45]
	s_getpc_b64 s[6:7]
	s_add_u32 s6, s6, __assert_fail@rel32@lo+4
	s_addc_u32 s7, s7, __assert_fail@rel32@hi+12
	s_delay_alu instid0(SALU_CYCLE_1)
	s_swappc_b64 s[30:31], s[6:7]
	s_or_b32 s35, s51, exec_lo
                                        ; implicit-def: $vgpr1
                                        ; implicit-def: $vgpr42
                                        ; implicit-def: $vgpr0
                                        ; implicit-def: $vgpr44_vgpr45
                                        ; implicit-def: $vgpr41
                                        ; implicit-def: $vgpr58
.LBB6_1057:
	s_or_saveexec_b32 s36, s17
	v_readlane_b32 s21, v56, 12
	v_readlane_b32 s22, v56, 11
	;; [unrolled: 1-line block ×13, first 2 shown]
	s_mov_b32 s0, 0
	s_mov_b32 s1, s41
                                        ; implicit-def: $vgpr40
	s_xor_b32 exec_lo, exec_lo, s36
	s_cbranch_execz .LBB6_1443
; %bb.1058:
	v_or_b32_e32 v2, v0, v42
	s_mov_b32 s0, -1
	s_mov_b32 s1, s41
	s_mov_b32 s2, s35
	s_mov_b32 s37, exec_lo
                                        ; implicit-def: $vgpr40
	v_cmpx_lt_i32_e32 -1, v2
	s_cbranch_execz .LBB6_1442
; %bb.1059:
	scratch_load_b32 v6, off, s33 offset:116
	v_ashrrev_i32_e32 v2, 31, v1
	v_max_i32_e32 v4, v42, v0
	v_min_i32_e32 v5, v42, v0
	v_add_nc_u32_e32 v0, 1, v1
	v_lshlrev_b32_e32 v40, 1, v1
	v_lshlrev_b64 v[2:3], 3, v[1:2]
	v_lshlrev_b32_e32 v4, 1, v4
	s_mov_b32 s1, -1
	s_mov_b32 s0, s35
	s_mov_b32 s38, exec_lo
	s_delay_alu instid0(VALU_DEP_2)
	v_add_co_u32 v2, vcc_lo, v44, v2
	v_add_co_ci_u32_e32 v3, vcc_lo, v45, v3, vcc_lo
	s_clause 0x1
	flat_store_b32 v[44:45], v0
	flat_store_b64 v[2:3], v[4:5] offset:8
	s_waitcnt vmcnt(0)
	v_cmpx_ne_u32_e32 0, v6
	s_cbranch_execz .LBB6_1439
; %bb.1060:
	s_mov_b64 s[0:1], src_private_base
	s_getpc_b64 s[2:3]
	s_add_u32 s2, s2, _ZN3sop12sopFactorRecEPNS_3SopEiP7VecsMemIjLi8192EEPN8subgUtil4SubgILi256EEE@rel32@lo+4
	s_addc_u32 s3, s3, _ZN3sop12sopFactorRecEPNS_3SopEiP7VecsMemIjLi8192EEPN8subgUtil4SubgILi256EEE@rel32@hi+12
	s_add_i32 s0, s33, 0x70
	s_delay_alu instid0(SALU_CYCLE_1)
	v_dual_mov_b32 v1, s1 :: v_dual_mov_b32 v0, s0
	v_dual_mov_b32 v2, v41 :: v_dual_mov_b32 v3, v58
	;; [unrolled: 1-line block ×3, first 2 shown]
	v_mov_b32_e32 v6, v45
	s_mov_b64 s[8:9], s[44:45]
	s_swappc_b64 s[30:31], s[2:3]
	flat_load_b32 v1, v[44:45]
	s_mov_b32 s17, s35
	s_mov_b32 s0, exec_lo
	s_waitcnt vmcnt(0) lgkmcnt(0)
	v_cmpx_lt_i32_e32 0xff, v1
	s_xor_b32 s18, exec_lo, s0
	s_cbranch_execz .LBB6_1062
; %bb.1061:
	s_getpc_b64 s[0:1]
	s_add_u32 s0, s0, .str.43@rel32@lo+4
	s_addc_u32 s1, s1, .str.43@rel32@hi+12
	s_getpc_b64 s[2:3]
	s_add_u32 s2, s2, .str.44@rel32@lo+4
	s_addc_u32 s3, s3, .str.44@rel32@hi+12
	s_getpc_b64 s[4:5]
	s_add_u32 s4, s4, __PRETTY_FUNCTION__._ZN8subgUtil4SubgILi256EE9addNodeOrEii@rel32@lo+4
	s_addc_u32 s5, s5, __PRETTY_FUNCTION__._ZN8subgUtil4SubgILi256EE9addNodeOrEii@rel32@hi+12
	v_dual_mov_b32 v0, s0 :: v_dual_mov_b32 v1, s1
	v_dual_mov_b32 v2, s2 :: v_dual_mov_b32 v3, s3
	;; [unrolled: 1-line block ×3, first 2 shown]
	v_mov_b32_e32 v6, s5
	s_mov_b64 s[8:9], s[44:45]
	s_getpc_b64 s[6:7]
	s_add_u32 s6, s6, __assert_fail@rel32@lo+4
	s_addc_u32 s7, s7, __assert_fail@rel32@hi+12
	s_delay_alu instid0(SALU_CYCLE_1)
	s_swappc_b64 s[30:31], s[6:7]
	s_or_b32 s17, s35, exec_lo
                                        ; implicit-def: $vgpr0
                                        ; implicit-def: $vgpr40
                                        ; implicit-def: $vgpr44_vgpr45
.LBB6_1062:
	s_or_saveexec_b32 s18, s18
	s_mov_b32 s1, 0
	s_xor_b32 exec_lo, exec_lo, s18
	s_cbranch_execz .LBB6_1438
; %bb.1063:
	v_min_i32_e32 v37, v40, v0
	v_max_i32_e32 v3, v40, v0
	s_delay_alu instid0(VALU_DEP_2) | instskip(NEXT) | instid1(VALU_DEP_2)
	v_xor_b32_e32 v33, 1, v37
	v_xor_b32_e32 v34, 1, v3
	s_delay_alu instid0(VALU_DEP_1) | instskip(NEXT) | instid1(VALU_DEP_1)
	v_cmp_gt_i32_e64 s0, v33, v34
	s_and_saveexec_b32 s16, s0
	s_cbranch_execz .LBB6_1433
; %bb.1064:
	s_load_b64 s[4:5], s[44:45], 0x50
	v_mbcnt_lo_u32_b32 v36, -1, 0
	v_mov_b32_e32 v1, 0
	v_mov_b32_e32 v2, 0
	s_delay_alu instid0(VALU_DEP_3) | instskip(NEXT) | instid1(VALU_DEP_1)
	v_readfirstlane_b32 s1, v36
	v_cmp_eq_u32_e64 s1, s1, v36
	s_delay_alu instid0(VALU_DEP_1)
	s_and_saveexec_b32 s2, s1
	s_cbranch_execz .LBB6_1070
; %bb.1065:
	v_mov_b32_e32 v4, 0
	s_mov_b32 s3, exec_lo
	s_waitcnt lgkmcnt(0)
	global_load_b64 v[7:8], v4, s[4:5] offset:24 glc
	s_waitcnt vmcnt(0)
	buffer_gl1_inv
	buffer_gl0_inv
	s_clause 0x1
	global_load_b64 v[1:2], v4, s[4:5] offset:40
	global_load_b64 v[5:6], v4, s[4:5]
	s_waitcnt vmcnt(1)
	v_and_b32_e32 v1, v1, v7
	v_and_b32_e32 v2, v2, v8
	s_delay_alu instid0(VALU_DEP_2) | instskip(NEXT) | instid1(VALU_DEP_2)
	v_mul_hi_u32 v9, v1, 24
	v_mul_lo_u32 v2, v2, 24
	v_mul_lo_u32 v1, v1, 24
	s_delay_alu instid0(VALU_DEP_2) | instskip(SKIP_1) | instid1(VALU_DEP_2)
	v_add_nc_u32_e32 v2, v9, v2
	s_waitcnt vmcnt(0)
	v_add_co_u32 v1, vcc_lo, v5, v1
	s_delay_alu instid0(VALU_DEP_2)
	v_add_co_ci_u32_e32 v2, vcc_lo, v6, v2, vcc_lo
	global_load_b64 v[5:6], v[1:2], off glc
	s_waitcnt vmcnt(0)
	global_atomic_cmpswap_b64 v[1:2], v4, v[5:8], s[4:5] offset:24 glc
	s_waitcnt vmcnt(0)
	buffer_gl1_inv
	buffer_gl0_inv
	v_cmpx_ne_u64_e64 v[1:2], v[7:8]
	s_cbranch_execz .LBB6_1069
; %bb.1066:
	s_mov_b32 s6, 0
.LBB6_1067:                             ; =>This Inner Loop Header: Depth=1
	s_sleep 1
	s_clause 0x1
	global_load_b64 v[5:6], v4, s[4:5] offset:40
	global_load_b64 v[9:10], v4, s[4:5]
	v_dual_mov_b32 v8, v2 :: v_dual_mov_b32 v7, v1
	s_waitcnt vmcnt(1)
	s_delay_alu instid0(VALU_DEP_1) | instskip(SKIP_1) | instid1(VALU_DEP_1)
	v_and_b32_e32 v5, v5, v7
	s_waitcnt vmcnt(0)
	v_mad_u64_u32 v[1:2], null, v5, 24, v[9:10]
	v_and_b32_e32 v9, v6, v8
	s_delay_alu instid0(VALU_DEP_1) | instskip(NEXT) | instid1(VALU_DEP_1)
	v_mad_u64_u32 v[5:6], null, v9, 24, v[2:3]
	v_mov_b32_e32 v2, v5
	global_load_b64 v[5:6], v[1:2], off glc
	s_waitcnt vmcnt(0)
	global_atomic_cmpswap_b64 v[1:2], v4, v[5:8], s[4:5] offset:24 glc
	s_waitcnt vmcnt(0)
	buffer_gl1_inv
	buffer_gl0_inv
	v_cmp_eq_u64_e32 vcc_lo, v[1:2], v[7:8]
	s_or_b32 s6, vcc_lo, s6
	s_delay_alu instid0(SALU_CYCLE_1)
	s_and_not1_b32 exec_lo, exec_lo, s6
	s_cbranch_execnz .LBB6_1067
; %bb.1068:
	s_or_b32 exec_lo, exec_lo, s6
.LBB6_1069:
	s_delay_alu instid0(SALU_CYCLE_1)
	s_or_b32 exec_lo, exec_lo, s3
.LBB6_1070:
	s_delay_alu instid0(SALU_CYCLE_1)
	s_or_b32 exec_lo, exec_lo, s2
	v_mov_b32_e32 v9, 0
	v_readfirstlane_b32 s2, v1
	v_readfirstlane_b32 s3, v2
	s_mov_b32 s8, exec_lo
	s_waitcnt lgkmcnt(0)
	s_clause 0x1
	global_load_b64 v[10:11], v9, s[4:5] offset:40
	global_load_b128 v[4:7], v9, s[4:5]
	s_waitcnt vmcnt(1)
	v_readfirstlane_b32 s6, v10
	v_readfirstlane_b32 s7, v11
	s_delay_alu instid0(VALU_DEP_1) | instskip(NEXT) | instid1(SALU_CYCLE_1)
	s_and_b64 s[6:7], s[2:3], s[6:7]
	s_mul_i32 s9, s7, 24
	s_mul_hi_u32 s10, s6, 24
	s_mul_i32 s11, s6, 24
	s_add_i32 s10, s10, s9
	s_waitcnt vmcnt(0)
	v_add_co_u32 v1, vcc_lo, v4, s11
	v_add_co_ci_u32_e32 v2, vcc_lo, s10, v5, vcc_lo
	s_and_saveexec_b32 s9, s1
	s_cbranch_execz .LBB6_1072
; %bb.1071:
	v_dual_mov_b32 v8, s8 :: v_dual_mov_b32 v11, 1
	v_mov_b32_e32 v10, 2
	global_store_b128 v[1:2], v[8:11], off offset:8
.LBB6_1072:
	s_or_b32 exec_lo, exec_lo, s9
	s_lshl_b64 s[6:7], s[6:7], 12
	v_dual_mov_b32 v8, 33 :: v_dual_lshlrev_b32 v35, 6, v36
	v_add_co_u32 v6, vcc_lo, v6, s6
	v_add_co_ci_u32_e32 v7, vcc_lo, s7, v7, vcc_lo
	s_mov_b32 s8, 0
	s_delay_alu instid0(VALU_DEP_2)
	v_add_co_u32 v12, vcc_lo, v6, v35
	s_mov_b32 s11, s8
	s_mov_b32 s9, s8
	;; [unrolled: 1-line block ×3, first 2 shown]
	v_dual_mov_b32 v10, v9 :: v_dual_mov_b32 v17, s11
	v_dual_mov_b32 v11, v9 :: v_dual_mov_b32 v16, s10
	v_readfirstlane_b32 s6, v6
	v_readfirstlane_b32 s7, v7
	v_add_co_ci_u32_e32 v13, vcc_lo, 0, v7, vcc_lo
	v_dual_mov_b32 v15, s9 :: v_dual_mov_b32 v14, s8
	s_clause 0x3
	global_store_b128 v35, v[8:11], s[6:7]
	global_store_b128 v35, v[14:17], s[6:7] offset:16
	global_store_b128 v35, v[14:17], s[6:7] offset:32
	global_store_b128 v35, v[14:17], s[6:7] offset:48
	s_and_saveexec_b32 s6, s1
	s_cbranch_execz .LBB6_1079
; %bb.1073:
	v_mov_b32_e32 v10, 0
	s_mov_b32 s7, exec_lo
	s_clause 0x1
	global_load_b64 v[16:17], v10, s[4:5] offset:32 glc
	global_load_b64 v[6:7], v10, s[4:5] offset:40
	v_dual_mov_b32 v15, s3 :: v_dual_mov_b32 v14, s2
	s_waitcnt vmcnt(0)
	v_and_b32_e32 v7, s3, v7
	v_and_b32_e32 v6, s2, v6
	s_delay_alu instid0(VALU_DEP_2) | instskip(NEXT) | instid1(VALU_DEP_2)
	v_mul_lo_u32 v7, v7, 24
	v_mul_hi_u32 v8, v6, 24
	v_mul_lo_u32 v6, v6, 24
	s_delay_alu instid0(VALU_DEP_2) | instskip(NEXT) | instid1(VALU_DEP_2)
	v_add_nc_u32_e32 v7, v8, v7
	v_add_co_u32 v8, vcc_lo, v4, v6
	s_delay_alu instid0(VALU_DEP_2)
	v_add_co_ci_u32_e32 v9, vcc_lo, v5, v7, vcc_lo
	global_store_b64 v[8:9], v[16:17], off
	s_waitcnt_vscnt null, 0x0
	global_atomic_cmpswap_b64 v[6:7], v10, v[14:17], s[4:5] offset:32 glc
	s_waitcnt vmcnt(0)
	v_cmpx_ne_u64_e64 v[6:7], v[16:17]
	s_cbranch_execz .LBB6_1075
.LBB6_1074:                             ; =>This Inner Loop Header: Depth=1
	v_dual_mov_b32 v4, s2 :: v_dual_mov_b32 v5, s3
	s_sleep 1
	global_store_b64 v[8:9], v[6:7], off
	s_waitcnt_vscnt null, 0x0
	global_atomic_cmpswap_b64 v[4:5], v10, v[4:7], s[4:5] offset:32 glc
	s_waitcnt vmcnt(0)
	v_cmp_eq_u64_e32 vcc_lo, v[4:5], v[6:7]
	v_dual_mov_b32 v7, v5 :: v_dual_mov_b32 v6, v4
	s_or_b32 s8, vcc_lo, s8
	s_delay_alu instid0(SALU_CYCLE_1)
	s_and_not1_b32 exec_lo, exec_lo, s8
	s_cbranch_execnz .LBB6_1074
.LBB6_1075:
	s_or_b32 exec_lo, exec_lo, s7
	v_mov_b32_e32 v7, 0
	s_mov_b32 s8, exec_lo
	s_mov_b32 s7, exec_lo
	v_mbcnt_lo_u32_b32 v6, s8, 0
	global_load_b64 v[4:5], v7, s[4:5] offset:16
	v_cmpx_eq_u32_e32 0, v6
	s_cbranch_execz .LBB6_1077
; %bb.1076:
	s_bcnt1_i32_b32 s8, s8
	s_delay_alu instid0(SALU_CYCLE_1)
	v_mov_b32_e32 v6, s8
	s_waitcnt vmcnt(0)
	global_atomic_add_u64 v[4:5], v[6:7], off offset:8
.LBB6_1077:
	s_or_b32 exec_lo, exec_lo, s7
	s_waitcnt vmcnt(0)
	global_load_b64 v[6:7], v[4:5], off offset:16
	s_waitcnt vmcnt(0)
	v_cmp_eq_u64_e32 vcc_lo, 0, v[6:7]
	s_cbranch_vccnz .LBB6_1079
; %bb.1078:
	global_load_b32 v4, v[4:5], off offset:24
	s_waitcnt vmcnt(0)
	v_dual_mov_b32 v5, 0 :: v_dual_and_b32 v8, 0xffffff, v4
	s_waitcnt_vscnt null, 0x0
	global_store_b64 v[6:7], v[4:5], off
	v_readfirstlane_b32 m0, v8
	s_sendmsg sendmsg(MSG_INTERRUPT)
.LBB6_1079:
	s_or_b32 exec_lo, exec_lo, s6
	s_branch .LBB6_1081
.LBB6_1080:
	s_branch .LBB6_1085
.LBB6_1081:                             ; =>This Inner Loop Header: Depth=1
	v_mov_b32_e32 v4, 1
	s_and_saveexec_b32 s6, s1
	s_cbranch_execz .LBB6_1083
; %bb.1082:                             ;   in Loop: Header=BB6_1081 Depth=1
	global_load_b32 v4, v[1:2], off offset:20 glc
	s_waitcnt vmcnt(0)
	buffer_gl1_inv
	buffer_gl0_inv
	v_and_b32_e32 v4, 1, v4
.LBB6_1083:                             ;   in Loop: Header=BB6_1081 Depth=1
	s_or_b32 exec_lo, exec_lo, s6
	s_delay_alu instid0(VALU_DEP_1) | instskip(NEXT) | instid1(VALU_DEP_1)
	v_readfirstlane_b32 s6, v4
	s_cmp_eq_u32 s6, 0
	s_cbranch_scc1 .LBB6_1080
; %bb.1084:                             ;   in Loop: Header=BB6_1081 Depth=1
	s_sleep 1
	s_cbranch_execnz .LBB6_1081
.LBB6_1085:
	global_load_b64 v[4:5], v[12:13], off
	s_and_saveexec_b32 s6, s1
	s_cbranch_execz .LBB6_1089
; %bb.1086:
	v_mov_b32_e32 v10, 0
	s_clause 0x2
	global_load_b64 v[1:2], v10, s[4:5] offset:40
	global_load_b64 v[11:12], v10, s[4:5] offset:24 glc
	global_load_b64 v[8:9], v10, s[4:5]
	s_waitcnt vmcnt(2)
	v_add_co_u32 v13, vcc_lo, v1, 1
	v_add_co_ci_u32_e32 v14, vcc_lo, 0, v2, vcc_lo
	s_delay_alu instid0(VALU_DEP_2) | instskip(NEXT) | instid1(VALU_DEP_2)
	v_add_co_u32 v6, vcc_lo, v13, s2
	v_add_co_ci_u32_e32 v7, vcc_lo, s3, v14, vcc_lo
	s_delay_alu instid0(VALU_DEP_1) | instskip(SKIP_1) | instid1(VALU_DEP_1)
	v_cmp_eq_u64_e32 vcc_lo, 0, v[6:7]
	v_dual_cndmask_b32 v7, v7, v14 :: v_dual_cndmask_b32 v6, v6, v13
	v_and_b32_e32 v2, v7, v2
	s_delay_alu instid0(VALU_DEP_2) | instskip(NEXT) | instid1(VALU_DEP_2)
	v_and_b32_e32 v1, v6, v1
	v_mul_lo_u32 v2, v2, 24
	s_delay_alu instid0(VALU_DEP_2) | instskip(SKIP_1) | instid1(VALU_DEP_2)
	v_mul_hi_u32 v13, v1, 24
	v_mul_lo_u32 v1, v1, 24
	v_add_nc_u32_e32 v2, v13, v2
	s_waitcnt vmcnt(0)
	s_delay_alu instid0(VALU_DEP_2) | instskip(SKIP_1) | instid1(VALU_DEP_3)
	v_add_co_u32 v1, vcc_lo, v8, v1
	v_mov_b32_e32 v8, v11
	v_add_co_ci_u32_e32 v2, vcc_lo, v9, v2, vcc_lo
	v_mov_b32_e32 v9, v12
	global_store_b64 v[1:2], v[11:12], off
	s_waitcnt_vscnt null, 0x0
	global_atomic_cmpswap_b64 v[8:9], v10, v[6:9], s[4:5] offset:24 glc
	s_waitcnt vmcnt(0)
	v_cmp_ne_u64_e32 vcc_lo, v[8:9], v[11:12]
	s_and_b32 exec_lo, exec_lo, vcc_lo
	s_cbranch_execz .LBB6_1089
; %bb.1087:
	s_mov_b32 s1, 0
.LBB6_1088:                             ; =>This Inner Loop Header: Depth=1
	s_sleep 1
	global_store_b64 v[1:2], v[8:9], off
	s_waitcnt_vscnt null, 0x0
	global_atomic_cmpswap_b64 v[11:12], v10, v[6:9], s[4:5] offset:24 glc
	s_waitcnt vmcnt(0)
	v_cmp_eq_u64_e32 vcc_lo, v[11:12], v[8:9]
	v_dual_mov_b32 v8, v11 :: v_dual_mov_b32 v9, v12
	s_or_b32 s1, vcc_lo, s1
	s_delay_alu instid0(SALU_CYCLE_1)
	s_and_not1_b32 exec_lo, exec_lo, s1
	s_cbranch_execnz .LBB6_1088
.LBB6_1089:
	s_or_b32 exec_lo, exec_lo, s6
	s_getpc_b64 s[6:7]
	s_add_u32 s6, s6, .str.45@rel32@lo+4
	s_addc_u32 s7, s7, .str.45@rel32@hi+12
	s_delay_alu instid0(SALU_CYCLE_1)
	s_cmp_lg_u64 s[6:7], 0
	s_cbranch_scc0 .LBB6_1352
; %bb.1090:
	s_waitcnt vmcnt(0)
	v_dual_mov_b32 v7, v5 :: v_dual_and_b32 v38, 2, v4
	v_dual_mov_b32 v10, 0 :: v_dual_mov_b32 v11, 2
	v_and_b32_e32 v6, -3, v4
	v_mov_b32_e32 v12, 1
	s_mov_b64 s[8:9], 7
	s_branch .LBB6_1092
.LBB6_1091:                             ;   in Loop: Header=BB6_1092 Depth=1
	s_or_b32 exec_lo, exec_lo, s2
	s_sub_u32 s8, s8, s10
	s_subb_u32 s9, s9, s11
	s_add_u32 s6, s6, s10
	s_addc_u32 s7, s7, s11
	s_cmp_lg_u64 s[8:9], 0
	s_cbranch_scc0 .LBB6_1351
.LBB6_1092:                             ; =>This Loop Header: Depth=1
                                        ;     Child Loop BB6_1095 Depth 2
                                        ;     Child Loop BB6_1100 Depth 2
	;; [unrolled: 1-line block ×11, first 2 shown]
	v_cmp_lt_u64_e64 s1, s[8:9], 56
	v_cmp_gt_u64_e64 s2, s[8:9], 7
                                        ; implicit-def: $vgpr15_vgpr16
	s_delay_alu instid0(VALU_DEP_2) | instskip(SKIP_2) | instid1(VALU_DEP_1)
	s_and_b32 s1, s1, exec_lo
	s_cselect_b32 s11, s9, 0
	s_cselect_b32 s10, s8, 56
	s_and_b32 vcc_lo, exec_lo, s2
	s_mov_b32 s2, -1
                                        ; implicit-def: $sgpr1
	s_cbranch_vccnz .LBB6_1102
; %bb.1093:                             ;   in Loop: Header=BB6_1092 Depth=1
	v_mov_b32_e32 v15, 0
	v_mov_b32_e32 v16, 0
	s_cmp_eq_u64 s[8:9], 0
	s_mov_b64 s[2:3], 0
	s_cbranch_scc1 .LBB6_1096
; %bb.1094:                             ;   in Loop: Header=BB6_1092 Depth=1
	v_mov_b32_e32 v15, 0
	v_mov_b32_e32 v16, 0
	s_lshl_b64 s[12:13], s[10:11], 3
	s_mov_b64 s[14:15], s[6:7]
.LBB6_1095:                             ;   Parent Loop BB6_1092 Depth=1
                                        ; =>  This Inner Loop Header: Depth=2
	global_load_u8 v1, v10, s[14:15]
	s_waitcnt vmcnt(0)
	v_and_b32_e32 v9, 0xffff, v1
	s_delay_alu instid0(VALU_DEP_1)
	v_lshlrev_b64 v[1:2], s2, v[9:10]
	s_add_u32 s2, s2, 8
	s_addc_u32 s3, s3, 0
	s_add_u32 s14, s14, 1
	s_addc_u32 s15, s15, 0
	s_cmp_lg_u32 s12, s2
	v_or_b32_e32 v15, v1, v15
	v_or_b32_e32 v16, v2, v16
	s_cbranch_scc1 .LBB6_1095
.LBB6_1096:                             ;   in Loop: Header=BB6_1092 Depth=1
	s_mov_b32 s1, 0
	s_mov_b64 s[2:3], s[6:7]
	s_cbranch_execz .LBB6_1103
.LBB6_1097:                             ;   in Loop: Header=BB6_1092 Depth=1
	s_cmp_gt_u32 s1, 7
	s_cbranch_scc1 .LBB6_1104
.LBB6_1098:                             ;   in Loop: Header=BB6_1092 Depth=1
	v_mov_b32_e32 v17, 0
	v_mov_b32_e32 v18, 0
	s_cmp_eq_u32 s1, 0
	s_cbranch_scc1 .LBB6_1101
; %bb.1099:                             ;   in Loop: Header=BB6_1092 Depth=1
	s_mov_b64 s[12:13], 0
	s_mov_b64 s[14:15], 0
.LBB6_1100:                             ;   Parent Loop BB6_1092 Depth=1
                                        ; =>  This Inner Loop Header: Depth=2
	s_delay_alu instid0(SALU_CYCLE_1)
	s_add_u32 s20, s2, s14
	s_addc_u32 s21, s3, s15
	s_add_u32 s14, s14, 1
	global_load_u8 v1, v10, s[20:21]
	s_addc_u32 s15, s15, 0
	s_waitcnt vmcnt(0)
	v_and_b32_e32 v9, 0xffff, v1
	s_delay_alu instid0(VALU_DEP_1) | instskip(SKIP_3) | instid1(VALU_DEP_1)
	v_lshlrev_b64 v[1:2], s12, v[9:10]
	s_add_u32 s12, s12, 8
	s_addc_u32 s13, s13, 0
	s_cmp_lg_u32 s1, s14
	v_or_b32_e32 v17, v1, v17
	s_delay_alu instid0(VALU_DEP_2)
	v_or_b32_e32 v18, v2, v18
	s_cbranch_scc1 .LBB6_1100
.LBB6_1101:                             ;   in Loop: Header=BB6_1092 Depth=1
	s_mov_b32 s12, 0
	s_mov_b32 s19, 0
	s_branch .LBB6_1105
.LBB6_1102:                             ;   in Loop: Header=BB6_1092 Depth=1
	s_and_not1_b32 vcc_lo, exec_lo, s2
	s_mov_b64 s[2:3], s[6:7]
	s_cbranch_vccnz .LBB6_1097
.LBB6_1103:                             ;   in Loop: Header=BB6_1092 Depth=1
	global_load_b64 v[15:16], v10, s[6:7]
	s_add_i32 s1, s10, -8
	s_add_u32 s2, s6, 8
	s_addc_u32 s3, s7, 0
	s_cmp_gt_u32 s1, 7
	s_cbranch_scc0 .LBB6_1098
.LBB6_1104:                             ;   in Loop: Header=BB6_1092 Depth=1
	s_mov_b32 s12, -1
                                        ; implicit-def: $vgpr17_vgpr18
                                        ; implicit-def: $sgpr19
.LBB6_1105:                             ;   in Loop: Header=BB6_1092 Depth=1
	s_delay_alu instid0(SALU_CYCLE_1)
	s_and_not1_b32 vcc_lo, exec_lo, s12
	s_cbranch_vccnz .LBB6_1107
; %bb.1106:                             ;   in Loop: Header=BB6_1092 Depth=1
	global_load_b64 v[17:18], v10, s[2:3]
	s_add_i32 s19, s1, -8
	s_add_u32 s2, s2, 8
	s_addc_u32 s3, s3, 0
.LBB6_1107:                             ;   in Loop: Header=BB6_1092 Depth=1
	s_cmp_gt_u32 s19, 7
	s_cbranch_scc1 .LBB6_1112
; %bb.1108:                             ;   in Loop: Header=BB6_1092 Depth=1
	v_mov_b32_e32 v19, 0
	v_mov_b32_e32 v20, 0
	s_cmp_eq_u32 s19, 0
	s_cbranch_scc1 .LBB6_1111
; %bb.1109:                             ;   in Loop: Header=BB6_1092 Depth=1
	s_mov_b64 s[12:13], 0
	s_mov_b64 s[14:15], 0
.LBB6_1110:                             ;   Parent Loop BB6_1092 Depth=1
                                        ; =>  This Inner Loop Header: Depth=2
	s_delay_alu instid0(SALU_CYCLE_1)
	s_add_u32 s20, s2, s14
	s_addc_u32 s21, s3, s15
	s_add_u32 s14, s14, 1
	global_load_u8 v1, v10, s[20:21]
	s_addc_u32 s15, s15, 0
	s_waitcnt vmcnt(0)
	v_and_b32_e32 v9, 0xffff, v1
	s_delay_alu instid0(VALU_DEP_1) | instskip(SKIP_3) | instid1(VALU_DEP_1)
	v_lshlrev_b64 v[1:2], s12, v[9:10]
	s_add_u32 s12, s12, 8
	s_addc_u32 s13, s13, 0
	s_cmp_lg_u32 s19, s14
	v_or_b32_e32 v19, v1, v19
	s_delay_alu instid0(VALU_DEP_2)
	v_or_b32_e32 v20, v2, v20
	s_cbranch_scc1 .LBB6_1110
.LBB6_1111:                             ;   in Loop: Header=BB6_1092 Depth=1
	s_mov_b32 s12, 0
	s_mov_b32 s1, 0
	s_branch .LBB6_1113
.LBB6_1112:                             ;   in Loop: Header=BB6_1092 Depth=1
	s_mov_b32 s12, -1
                                        ; implicit-def: $sgpr1
.LBB6_1113:                             ;   in Loop: Header=BB6_1092 Depth=1
	s_delay_alu instid0(SALU_CYCLE_1)
	s_and_not1_b32 vcc_lo, exec_lo, s12
	s_cbranch_vccnz .LBB6_1115
; %bb.1114:                             ;   in Loop: Header=BB6_1092 Depth=1
	global_load_b64 v[19:20], v10, s[2:3]
	s_add_i32 s1, s19, -8
	s_add_u32 s2, s2, 8
	s_addc_u32 s3, s3, 0
.LBB6_1115:                             ;   in Loop: Header=BB6_1092 Depth=1
	s_cmp_gt_u32 s1, 7
	s_cbranch_scc1 .LBB6_1120
; %bb.1116:                             ;   in Loop: Header=BB6_1092 Depth=1
	v_mov_b32_e32 v21, 0
	v_mov_b32_e32 v22, 0
	s_cmp_eq_u32 s1, 0
	s_cbranch_scc1 .LBB6_1119
; %bb.1117:                             ;   in Loop: Header=BB6_1092 Depth=1
	s_mov_b64 s[12:13], 0
	s_mov_b64 s[14:15], 0
.LBB6_1118:                             ;   Parent Loop BB6_1092 Depth=1
                                        ; =>  This Inner Loop Header: Depth=2
	s_delay_alu instid0(SALU_CYCLE_1)
	s_add_u32 s20, s2, s14
	s_addc_u32 s21, s3, s15
	s_add_u32 s14, s14, 1
	global_load_u8 v1, v10, s[20:21]
	s_addc_u32 s15, s15, 0
	s_waitcnt vmcnt(0)
	v_and_b32_e32 v9, 0xffff, v1
	s_delay_alu instid0(VALU_DEP_1) | instskip(SKIP_3) | instid1(VALU_DEP_1)
	v_lshlrev_b64 v[1:2], s12, v[9:10]
	s_add_u32 s12, s12, 8
	s_addc_u32 s13, s13, 0
	s_cmp_lg_u32 s1, s14
	v_or_b32_e32 v21, v1, v21
	s_delay_alu instid0(VALU_DEP_2)
	v_or_b32_e32 v22, v2, v22
	s_cbranch_scc1 .LBB6_1118
.LBB6_1119:                             ;   in Loop: Header=BB6_1092 Depth=1
	s_mov_b32 s12, 0
	s_mov_b32 s19, 0
	s_branch .LBB6_1121
.LBB6_1120:                             ;   in Loop: Header=BB6_1092 Depth=1
	s_mov_b32 s12, -1
                                        ; implicit-def: $vgpr21_vgpr22
                                        ; implicit-def: $sgpr19
.LBB6_1121:                             ;   in Loop: Header=BB6_1092 Depth=1
	s_delay_alu instid0(SALU_CYCLE_1)
	s_and_not1_b32 vcc_lo, exec_lo, s12
	s_cbranch_vccnz .LBB6_1123
; %bb.1122:                             ;   in Loop: Header=BB6_1092 Depth=1
	global_load_b64 v[21:22], v10, s[2:3]
	s_add_i32 s19, s1, -8
	s_add_u32 s2, s2, 8
	s_addc_u32 s3, s3, 0
.LBB6_1123:                             ;   in Loop: Header=BB6_1092 Depth=1
	s_cmp_gt_u32 s19, 7
	s_cbranch_scc1 .LBB6_1128
; %bb.1124:                             ;   in Loop: Header=BB6_1092 Depth=1
	v_mov_b32_e32 v23, 0
	v_mov_b32_e32 v24, 0
	s_cmp_eq_u32 s19, 0
	s_cbranch_scc1 .LBB6_1127
; %bb.1125:                             ;   in Loop: Header=BB6_1092 Depth=1
	s_mov_b64 s[12:13], 0
	s_mov_b64 s[14:15], 0
.LBB6_1126:                             ;   Parent Loop BB6_1092 Depth=1
                                        ; =>  This Inner Loop Header: Depth=2
	s_delay_alu instid0(SALU_CYCLE_1)
	s_add_u32 s20, s2, s14
	s_addc_u32 s21, s3, s15
	s_add_u32 s14, s14, 1
	global_load_u8 v1, v10, s[20:21]
	s_addc_u32 s15, s15, 0
	s_waitcnt vmcnt(0)
	v_and_b32_e32 v9, 0xffff, v1
	s_delay_alu instid0(VALU_DEP_1) | instskip(SKIP_3) | instid1(VALU_DEP_1)
	v_lshlrev_b64 v[1:2], s12, v[9:10]
	s_add_u32 s12, s12, 8
	s_addc_u32 s13, s13, 0
	s_cmp_lg_u32 s19, s14
	v_or_b32_e32 v23, v1, v23
	s_delay_alu instid0(VALU_DEP_2)
	v_or_b32_e32 v24, v2, v24
	s_cbranch_scc1 .LBB6_1126
.LBB6_1127:                             ;   in Loop: Header=BB6_1092 Depth=1
	s_mov_b32 s12, 0
	s_mov_b32 s1, 0
	s_branch .LBB6_1129
.LBB6_1128:                             ;   in Loop: Header=BB6_1092 Depth=1
	s_mov_b32 s12, -1
                                        ; implicit-def: $sgpr1
.LBB6_1129:                             ;   in Loop: Header=BB6_1092 Depth=1
	s_delay_alu instid0(SALU_CYCLE_1)
	s_and_not1_b32 vcc_lo, exec_lo, s12
	s_cbranch_vccnz .LBB6_1131
; %bb.1130:                             ;   in Loop: Header=BB6_1092 Depth=1
	global_load_b64 v[23:24], v10, s[2:3]
	s_add_i32 s1, s19, -8
	s_add_u32 s2, s2, 8
	s_addc_u32 s3, s3, 0
.LBB6_1131:                             ;   in Loop: Header=BB6_1092 Depth=1
	s_cmp_gt_u32 s1, 7
	s_cbranch_scc1 .LBB6_1136
; %bb.1132:                             ;   in Loop: Header=BB6_1092 Depth=1
	v_mov_b32_e32 v25, 0
	v_mov_b32_e32 v26, 0
	s_cmp_eq_u32 s1, 0
	s_cbranch_scc1 .LBB6_1135
; %bb.1133:                             ;   in Loop: Header=BB6_1092 Depth=1
	s_mov_b64 s[12:13], 0
	s_mov_b64 s[14:15], 0
.LBB6_1134:                             ;   Parent Loop BB6_1092 Depth=1
                                        ; =>  This Inner Loop Header: Depth=2
	s_delay_alu instid0(SALU_CYCLE_1)
	s_add_u32 s20, s2, s14
	s_addc_u32 s21, s3, s15
	s_add_u32 s14, s14, 1
	global_load_u8 v1, v10, s[20:21]
	s_addc_u32 s15, s15, 0
	s_waitcnt vmcnt(0)
	v_and_b32_e32 v9, 0xffff, v1
	s_delay_alu instid0(VALU_DEP_1) | instskip(SKIP_3) | instid1(VALU_DEP_1)
	v_lshlrev_b64 v[1:2], s12, v[9:10]
	s_add_u32 s12, s12, 8
	s_addc_u32 s13, s13, 0
	s_cmp_lg_u32 s1, s14
	v_or_b32_e32 v25, v1, v25
	s_delay_alu instid0(VALU_DEP_2)
	v_or_b32_e32 v26, v2, v26
	s_cbranch_scc1 .LBB6_1134
.LBB6_1135:                             ;   in Loop: Header=BB6_1092 Depth=1
	s_mov_b32 s12, 0
	s_mov_b32 s19, 0
	s_branch .LBB6_1137
.LBB6_1136:                             ;   in Loop: Header=BB6_1092 Depth=1
	s_mov_b32 s12, -1
                                        ; implicit-def: $vgpr25_vgpr26
                                        ; implicit-def: $sgpr19
.LBB6_1137:                             ;   in Loop: Header=BB6_1092 Depth=1
	s_delay_alu instid0(SALU_CYCLE_1)
	s_and_not1_b32 vcc_lo, exec_lo, s12
	s_cbranch_vccnz .LBB6_1139
; %bb.1138:                             ;   in Loop: Header=BB6_1092 Depth=1
	global_load_b64 v[25:26], v10, s[2:3]
	s_add_i32 s19, s1, -8
	s_add_u32 s2, s2, 8
	s_addc_u32 s3, s3, 0
.LBB6_1139:                             ;   in Loop: Header=BB6_1092 Depth=1
	s_cmp_gt_u32 s19, 7
	s_cbranch_scc1 .LBB6_1144
; %bb.1140:                             ;   in Loop: Header=BB6_1092 Depth=1
	v_mov_b32_e32 v27, 0
	v_mov_b32_e32 v28, 0
	s_cmp_eq_u32 s19, 0
	s_cbranch_scc1 .LBB6_1143
; %bb.1141:                             ;   in Loop: Header=BB6_1092 Depth=1
	s_mov_b64 s[12:13], 0
	s_mov_b64 s[14:15], s[2:3]
.LBB6_1142:                             ;   Parent Loop BB6_1092 Depth=1
                                        ; =>  This Inner Loop Header: Depth=2
	global_load_u8 v1, v10, s[14:15]
	s_add_i32 s19, s19, -1
	s_waitcnt vmcnt(0)
	v_and_b32_e32 v9, 0xffff, v1
	s_delay_alu instid0(VALU_DEP_1)
	v_lshlrev_b64 v[1:2], s12, v[9:10]
	s_add_u32 s12, s12, 8
	s_addc_u32 s13, s13, 0
	s_add_u32 s14, s14, 1
	s_addc_u32 s15, s15, 0
	s_cmp_lg_u32 s19, 0
	v_or_b32_e32 v27, v1, v27
	v_or_b32_e32 v28, v2, v28
	s_cbranch_scc1 .LBB6_1142
.LBB6_1143:                             ;   in Loop: Header=BB6_1092 Depth=1
	s_mov_b32 s1, 0
	s_branch .LBB6_1145
.LBB6_1144:                             ;   in Loop: Header=BB6_1092 Depth=1
	s_mov_b32 s1, -1
.LBB6_1145:                             ;   in Loop: Header=BB6_1092 Depth=1
	s_delay_alu instid0(SALU_CYCLE_1)
	s_and_not1_b32 vcc_lo, exec_lo, s1
	s_cbranch_vccnz .LBB6_1147
; %bb.1146:                             ;   in Loop: Header=BB6_1092 Depth=1
	global_load_b64 v[27:28], v10, s[2:3]
.LBB6_1147:                             ;   in Loop: Header=BB6_1092 Depth=1
	v_readfirstlane_b32 s1, v36
	v_mov_b32_e32 v1, 0
	v_mov_b32_e32 v2, 0
	s_delay_alu instid0(VALU_DEP_3) | instskip(NEXT) | instid1(VALU_DEP_1)
	v_cmp_eq_u32_e64 s1, s1, v36
	s_and_saveexec_b32 s2, s1
	s_cbranch_execz .LBB6_1153
; %bb.1148:                             ;   in Loop: Header=BB6_1092 Depth=1
	global_load_b64 v[31:32], v10, s[4:5] offset:24 glc
	s_waitcnt vmcnt(0)
	buffer_gl1_inv
	buffer_gl0_inv
	s_clause 0x1
	global_load_b64 v[1:2], v10, s[4:5] offset:40
	global_load_b64 v[8:9], v10, s[4:5]
	s_mov_b32 s3, exec_lo
	s_waitcnt vmcnt(1)
	v_and_b32_e32 v2, v2, v32
	v_and_b32_e32 v1, v1, v31
	s_delay_alu instid0(VALU_DEP_2) | instskip(NEXT) | instid1(VALU_DEP_2)
	v_mul_lo_u32 v2, v2, 24
	v_mul_hi_u32 v13, v1, 24
	v_mul_lo_u32 v1, v1, 24
	s_delay_alu instid0(VALU_DEP_2) | instskip(SKIP_1) | instid1(VALU_DEP_2)
	v_add_nc_u32_e32 v2, v13, v2
	s_waitcnt vmcnt(0)
	v_add_co_u32 v1, vcc_lo, v8, v1
	s_delay_alu instid0(VALU_DEP_2)
	v_add_co_ci_u32_e32 v2, vcc_lo, v9, v2, vcc_lo
	global_load_b64 v[29:30], v[1:2], off glc
	s_waitcnt vmcnt(0)
	global_atomic_cmpswap_b64 v[1:2], v10, v[29:32], s[4:5] offset:24 glc
	s_waitcnt vmcnt(0)
	buffer_gl1_inv
	buffer_gl0_inv
	v_cmpx_ne_u64_e64 v[1:2], v[31:32]
	s_cbranch_execz .LBB6_1152
; %bb.1149:                             ;   in Loop: Header=BB6_1092 Depth=1
	s_mov_b32 s12, 0
.LBB6_1150:                             ;   Parent Loop BB6_1092 Depth=1
                                        ; =>  This Inner Loop Header: Depth=2
	s_sleep 1
	s_clause 0x1
	global_load_b64 v[8:9], v10, s[4:5] offset:40
	global_load_b64 v[13:14], v10, s[4:5]
	v_dual_mov_b32 v32, v2 :: v_dual_mov_b32 v31, v1
	s_waitcnt vmcnt(1)
	s_delay_alu instid0(VALU_DEP_1) | instskip(SKIP_1) | instid1(VALU_DEP_1)
	v_and_b32_e32 v8, v8, v31
	s_waitcnt vmcnt(0)
	v_mad_u64_u32 v[1:2], null, v8, 24, v[13:14]
	v_and_b32_e32 v13, v9, v32
	s_delay_alu instid0(VALU_DEP_1) | instskip(NEXT) | instid1(VALU_DEP_1)
	v_mad_u64_u32 v[8:9], null, v13, 24, v[2:3]
	v_mov_b32_e32 v2, v8
	global_load_b64 v[29:30], v[1:2], off glc
	s_waitcnt vmcnt(0)
	global_atomic_cmpswap_b64 v[1:2], v10, v[29:32], s[4:5] offset:24 glc
	s_waitcnt vmcnt(0)
	buffer_gl1_inv
	buffer_gl0_inv
	v_cmp_eq_u64_e32 vcc_lo, v[1:2], v[31:32]
	s_or_b32 s12, vcc_lo, s12
	s_delay_alu instid0(SALU_CYCLE_1)
	s_and_not1_b32 exec_lo, exec_lo, s12
	s_cbranch_execnz .LBB6_1150
; %bb.1151:                             ;   in Loop: Header=BB6_1092 Depth=1
	s_or_b32 exec_lo, exec_lo, s12
.LBB6_1152:                             ;   in Loop: Header=BB6_1092 Depth=1
	s_delay_alu instid0(SALU_CYCLE_1)
	s_or_b32 exec_lo, exec_lo, s3
.LBB6_1153:                             ;   in Loop: Header=BB6_1092 Depth=1
	s_delay_alu instid0(SALU_CYCLE_1)
	s_or_b32 exec_lo, exec_lo, s2
	s_clause 0x1
	global_load_b64 v[8:9], v10, s[4:5] offset:40
	global_load_b128 v[29:32], v10, s[4:5]
	v_readfirstlane_b32 s12, v1
	v_readfirstlane_b32 s13, v2
	s_mov_b32 s14, exec_lo
	s_waitcnt vmcnt(1)
	v_readfirstlane_b32 s2, v8
	v_readfirstlane_b32 s3, v9
	s_delay_alu instid0(VALU_DEP_1) | instskip(NEXT) | instid1(SALU_CYCLE_1)
	s_and_b64 s[2:3], s[12:13], s[2:3]
	s_mul_i32 s15, s3, 24
	s_mul_hi_u32 s19, s2, 24
	s_mul_i32 s20, s2, 24
	s_add_i32 s19, s19, s15
	s_waitcnt vmcnt(0)
	v_add_co_u32 v1, vcc_lo, v29, s20
	v_add_co_ci_u32_e32 v2, vcc_lo, s19, v30, vcc_lo
	s_and_saveexec_b32 s15, s1
	s_cbranch_execz .LBB6_1155
; %bb.1154:                             ;   in Loop: Header=BB6_1092 Depth=1
	v_mov_b32_e32 v9, s14
	global_store_b128 v[1:2], v[9:12], off offset:8
.LBB6_1155:                             ;   in Loop: Header=BB6_1092 Depth=1
	s_or_b32 exec_lo, exec_lo, s15
	s_lshl_b64 s[2:3], s[2:3], 12
	v_cmp_gt_u64_e64 vcc_lo, s[8:9], 56
	v_or_b32_e32 v9, v6, v38
	v_add_co_u32 v31, s2, v31, s2
	s_delay_alu instid0(VALU_DEP_1)
	v_add_co_ci_u32_e64 v32, s2, s3, v32, s2
	s_lshl_b32 s2, s10, 2
	v_or_b32_e32 v8, 0, v7
	v_cndmask_b32_e32 v6, v9, v6, vcc_lo
	s_add_i32 s2, s2, 28
	v_readfirstlane_b32 s3, v32
	s_and_b32 s14, s2, 0x1e0
	v_cndmask_b32_e32 v14, v8, v7, vcc_lo
	v_readfirstlane_b32 s2, v31
	v_and_or_b32 v13, 0xffffff1f, v6, s14
	s_clause 0x3
	global_store_b128 v35, v[13:16], s[2:3]
	global_store_b128 v35, v[17:20], s[2:3] offset:16
	global_store_b128 v35, v[21:24], s[2:3] offset:32
	;; [unrolled: 1-line block ×3, first 2 shown]
	s_and_saveexec_b32 s2, s1
	s_cbranch_execz .LBB6_1163
; %bb.1156:                             ;   in Loop: Header=BB6_1092 Depth=1
	s_clause 0x1
	global_load_b64 v[17:18], v10, s[4:5] offset:32 glc
	global_load_b64 v[6:7], v10, s[4:5] offset:40
	v_dual_mov_b32 v15, s12 :: v_dual_mov_b32 v16, s13
	s_waitcnt vmcnt(0)
	v_readfirstlane_b32 s14, v6
	v_readfirstlane_b32 s15, v7
	s_delay_alu instid0(VALU_DEP_1) | instskip(NEXT) | instid1(SALU_CYCLE_1)
	s_and_b64 s[14:15], s[14:15], s[12:13]
	s_mul_i32 s3, s15, 24
	s_mul_hi_u32 s15, s14, 24
	s_mul_i32 s14, s14, 24
	s_add_i32 s15, s15, s3
	v_add_co_u32 v13, vcc_lo, v29, s14
	v_add_co_ci_u32_e32 v14, vcc_lo, s15, v30, vcc_lo
	s_mov_b32 s3, exec_lo
	global_store_b64 v[13:14], v[17:18], off
	s_waitcnt_vscnt null, 0x0
	global_atomic_cmpswap_b64 v[8:9], v10, v[15:18], s[4:5] offset:32 glc
	s_waitcnt vmcnt(0)
	v_cmpx_ne_u64_e64 v[8:9], v[17:18]
	s_cbranch_execz .LBB6_1159
; %bb.1157:                             ;   in Loop: Header=BB6_1092 Depth=1
	s_mov_b32 s14, 0
.LBB6_1158:                             ;   Parent Loop BB6_1092 Depth=1
                                        ; =>  This Inner Loop Header: Depth=2
	v_dual_mov_b32 v6, s12 :: v_dual_mov_b32 v7, s13
	s_sleep 1
	global_store_b64 v[13:14], v[8:9], off
	s_waitcnt_vscnt null, 0x0
	global_atomic_cmpswap_b64 v[6:7], v10, v[6:9], s[4:5] offset:32 glc
	s_waitcnt vmcnt(0)
	v_cmp_eq_u64_e32 vcc_lo, v[6:7], v[8:9]
	v_dual_mov_b32 v9, v7 :: v_dual_mov_b32 v8, v6
	s_or_b32 s14, vcc_lo, s14
	s_delay_alu instid0(SALU_CYCLE_1)
	s_and_not1_b32 exec_lo, exec_lo, s14
	s_cbranch_execnz .LBB6_1158
.LBB6_1159:                             ;   in Loop: Header=BB6_1092 Depth=1
	s_or_b32 exec_lo, exec_lo, s3
	global_load_b64 v[6:7], v10, s[4:5] offset:16
	s_mov_b32 s14, exec_lo
	s_mov_b32 s3, exec_lo
	v_mbcnt_lo_u32_b32 v8, s14, 0
	s_delay_alu instid0(VALU_DEP_1)
	v_cmpx_eq_u32_e32 0, v8
	s_cbranch_execz .LBB6_1161
; %bb.1160:                             ;   in Loop: Header=BB6_1092 Depth=1
	s_bcnt1_i32_b32 s14, s14
	s_delay_alu instid0(SALU_CYCLE_1)
	v_mov_b32_e32 v9, s14
	s_waitcnt vmcnt(0)
	global_atomic_add_u64 v[6:7], v[9:10], off offset:8
.LBB6_1161:                             ;   in Loop: Header=BB6_1092 Depth=1
	s_or_b32 exec_lo, exec_lo, s3
	s_waitcnt vmcnt(0)
	global_load_b64 v[13:14], v[6:7], off offset:16
	s_waitcnt vmcnt(0)
	v_cmp_eq_u64_e32 vcc_lo, 0, v[13:14]
	s_cbranch_vccnz .LBB6_1163
; %bb.1162:                             ;   in Loop: Header=BB6_1092 Depth=1
	global_load_b32 v9, v[6:7], off offset:24
	s_waitcnt vmcnt(0)
	v_and_b32_e32 v6, 0xffffff, v9
	s_waitcnt_vscnt null, 0x0
	global_store_b64 v[13:14], v[9:10], off
	v_readfirstlane_b32 m0, v6
	s_sendmsg sendmsg(MSG_INTERRUPT)
.LBB6_1163:                             ;   in Loop: Header=BB6_1092 Depth=1
	s_or_b32 exec_lo, exec_lo, s2
	v_add_co_u32 v6, vcc_lo, v31, v35
	v_add_co_ci_u32_e32 v7, vcc_lo, 0, v32, vcc_lo
	s_branch .LBB6_1165
.LBB6_1164:                             ;   in Loop: Header=BB6_1092 Depth=1
	s_branch .LBB6_1169
.LBB6_1165:                             ;   Parent Loop BB6_1092 Depth=1
                                        ; =>  This Inner Loop Header: Depth=2
	v_mov_b32_e32 v8, 1
	s_and_saveexec_b32 s2, s1
	s_cbranch_execz .LBB6_1167
; %bb.1166:                             ;   in Loop: Header=BB6_1165 Depth=2
	global_load_b32 v8, v[1:2], off offset:20 glc
	s_waitcnt vmcnt(0)
	buffer_gl1_inv
	buffer_gl0_inv
	v_and_b32_e32 v8, 1, v8
.LBB6_1167:                             ;   in Loop: Header=BB6_1165 Depth=2
	s_or_b32 exec_lo, exec_lo, s2
	s_delay_alu instid0(VALU_DEP_1) | instskip(NEXT) | instid1(VALU_DEP_1)
	v_readfirstlane_b32 s2, v8
	s_cmp_eq_u32 s2, 0
	s_cbranch_scc1 .LBB6_1164
; %bb.1168:                             ;   in Loop: Header=BB6_1165 Depth=2
	s_sleep 1
	s_cbranch_execnz .LBB6_1165
.LBB6_1169:                             ;   in Loop: Header=BB6_1092 Depth=1
	global_load_b128 v[6:9], v[6:7], off
	s_and_saveexec_b32 s2, s1
	s_cbranch_execz .LBB6_1091
; %bb.1170:                             ;   in Loop: Header=BB6_1092 Depth=1
	s_clause 0x2
	global_load_b64 v[1:2], v10, s[4:5] offset:40
	global_load_b64 v[8:9], v10, s[4:5] offset:24 glc
	global_load_b64 v[15:16], v10, s[4:5]
	s_waitcnt vmcnt(2)
	v_add_co_u32 v17, vcc_lo, v1, 1
	v_add_co_ci_u32_e32 v18, vcc_lo, 0, v2, vcc_lo
	s_delay_alu instid0(VALU_DEP_2) | instskip(NEXT) | instid1(VALU_DEP_2)
	v_add_co_u32 v13, vcc_lo, v17, s12
	v_add_co_ci_u32_e32 v14, vcc_lo, s13, v18, vcc_lo
	s_delay_alu instid0(VALU_DEP_1) | instskip(SKIP_1) | instid1(VALU_DEP_1)
	v_cmp_eq_u64_e32 vcc_lo, 0, v[13:14]
	v_dual_cndmask_b32 v14, v14, v18 :: v_dual_cndmask_b32 v13, v13, v17
	v_and_b32_e32 v2, v14, v2
	s_delay_alu instid0(VALU_DEP_2) | instskip(NEXT) | instid1(VALU_DEP_1)
	v_and_b32_e32 v1, v13, v1
	v_mul_hi_u32 v17, v1, 24
	v_mul_lo_u32 v1, v1, 24
	s_waitcnt vmcnt(0)
	s_delay_alu instid0(VALU_DEP_1) | instskip(SKIP_2) | instid1(VALU_DEP_1)
	v_add_co_u32 v1, vcc_lo, v15, v1
	v_mov_b32_e32 v15, v8
	v_mul_lo_u32 v2, v2, 24
	v_add_nc_u32_e32 v2, v17, v2
	s_delay_alu instid0(VALU_DEP_1)
	v_add_co_ci_u32_e32 v2, vcc_lo, v16, v2, vcc_lo
	v_mov_b32_e32 v16, v9
	global_store_b64 v[1:2], v[8:9], off
	s_waitcnt_vscnt null, 0x0
	global_atomic_cmpswap_b64 v[15:16], v10, v[13:16], s[4:5] offset:24 glc
	s_waitcnt vmcnt(0)
	v_cmp_ne_u64_e32 vcc_lo, v[15:16], v[8:9]
	s_and_b32 exec_lo, exec_lo, vcc_lo
	s_cbranch_execz .LBB6_1091
; %bb.1171:                             ;   in Loop: Header=BB6_1092 Depth=1
	s_mov_b32 s1, 0
.LBB6_1172:                             ;   Parent Loop BB6_1092 Depth=1
                                        ; =>  This Inner Loop Header: Depth=2
	s_sleep 1
	global_store_b64 v[1:2], v[15:16], off
	s_waitcnt_vscnt null, 0x0
	global_atomic_cmpswap_b64 v[8:9], v10, v[13:16], s[4:5] offset:24 glc
	s_waitcnt vmcnt(0)
	v_cmp_eq_u64_e32 vcc_lo, v[8:9], v[15:16]
	v_dual_mov_b32 v16, v9 :: v_dual_mov_b32 v15, v8
	s_or_b32 s1, vcc_lo, s1
	s_delay_alu instid0(SALU_CYCLE_1)
	s_and_not1_b32 exec_lo, exec_lo, s1
	s_cbranch_execnz .LBB6_1172
	s_branch .LBB6_1091
.LBB6_1173:
	s_mov_b32 s0, 0
	s_branch .LBB6_1175
.LBB6_1174:
	s_mov_b32 s0, -1
.LBB6_1175:
	s_delay_alu instid0(SALU_CYCLE_1)
	s_and_b32 vcc_lo, exec_lo, s0
	s_cbranch_vccz .LBB6_1203
; %bb.1176:
	v_readfirstlane_b32 s0, v28
	s_waitcnt vmcnt(0)
	v_mov_b32_e32 v8, 0
	v_mov_b32_e32 v9, 0
	s_mov_b32 s1, s37
	v_cmp_eq_u32_e64 s0, s0, v28
	s_delay_alu instid0(VALU_DEP_1)
	s_and_saveexec_b32 s4, s0
	s_cbranch_execz .LBB6_1182
; %bb.1177:
	v_mov_b32_e32 v2, 0
	s_mov_b32 s5, exec_lo
	global_load_b64 v[5:6], v2, s[2:3] offset:24 glc
	s_waitcnt vmcnt(0)
	buffer_gl1_inv
	buffer_gl0_inv
	s_clause 0x1
	global_load_b64 v[3:4], v2, s[2:3] offset:40
	global_load_b64 v[7:8], v2, s[2:3]
	s_waitcnt vmcnt(1)
	v_and_b32_e32 v3, v3, v5
	v_and_b32_e32 v4, v4, v6
	s_delay_alu instid0(VALU_DEP_2) | instskip(NEXT) | instid1(VALU_DEP_2)
	v_mul_hi_u32 v9, v3, 24
	v_mul_lo_u32 v4, v4, 24
	v_mul_lo_u32 v3, v3, 24
	s_delay_alu instid0(VALU_DEP_2) | instskip(SKIP_1) | instid1(VALU_DEP_2)
	v_add_nc_u32_e32 v4, v9, v4
	s_waitcnt vmcnt(0)
	v_add_co_u32 v3, vcc_lo, v7, v3
	s_delay_alu instid0(VALU_DEP_2)
	v_add_co_ci_u32_e32 v4, vcc_lo, v8, v4, vcc_lo
	global_load_b64 v[3:4], v[3:4], off glc
	s_waitcnt vmcnt(0)
	global_atomic_cmpswap_b64 v[8:9], v2, v[3:6], s[2:3] offset:24 glc
	s_waitcnt vmcnt(0)
	buffer_gl1_inv
	buffer_gl0_inv
	v_cmpx_ne_u64_e64 v[8:9], v[5:6]
	s_cbranch_execz .LBB6_1181
; %bb.1178:
	s_mov_b32 s6, 0
.LBB6_1179:                             ; =>This Inner Loop Header: Depth=1
	s_sleep 1
	s_clause 0x1
	global_load_b64 v[3:4], v2, s[2:3] offset:40
	global_load_b64 v[10:11], v2, s[2:3]
	v_dual_mov_b32 v5, v8 :: v_dual_mov_b32 v6, v9
	s_waitcnt vmcnt(1)
	s_delay_alu instid0(VALU_DEP_1) | instskip(NEXT) | instid1(VALU_DEP_2)
	v_and_b32_e32 v3, v3, v5
	v_and_b32_e32 v4, v4, v6
	s_waitcnt vmcnt(0)
	s_delay_alu instid0(VALU_DEP_2) | instskip(NEXT) | instid1(VALU_DEP_1)
	v_mad_u64_u32 v[7:8], null, v3, 24, v[10:11]
	v_mov_b32_e32 v3, v8
	s_delay_alu instid0(VALU_DEP_1)
	v_mad_u64_u32 v[8:9], null, v4, 24, v[3:4]
	global_load_b64 v[3:4], v[7:8], off glc
	s_waitcnt vmcnt(0)
	global_atomic_cmpswap_b64 v[8:9], v2, v[3:6], s[2:3] offset:24 glc
	s_waitcnt vmcnt(0)
	buffer_gl1_inv
	buffer_gl0_inv
	v_cmp_eq_u64_e32 vcc_lo, v[8:9], v[5:6]
	s_or_b32 s6, vcc_lo, s6
	s_delay_alu instid0(SALU_CYCLE_1)
	s_and_not1_b32 exec_lo, exec_lo, s6
	s_cbranch_execnz .LBB6_1179
; %bb.1180:
	s_or_b32 exec_lo, exec_lo, s6
.LBB6_1181:
	s_delay_alu instid0(SALU_CYCLE_1)
	s_or_b32 exec_lo, exec_lo, s5
.LBB6_1182:
	s_delay_alu instid0(SALU_CYCLE_1)
	s_or_b32 exec_lo, exec_lo, s4
	v_mov_b32_e32 v2, 0
	v_readfirstlane_b32 s4, v8
	v_readfirstlane_b32 s5, v9
	s_mov_b32 s9, exec_lo
	s_clause 0x1
	global_load_b64 v[10:11], v2, s[2:3] offset:40
	global_load_b128 v[4:7], v2, s[2:3]
	s_waitcnt vmcnt(1)
	v_readfirstlane_b32 s6, v10
	v_readfirstlane_b32 s7, v11
	s_delay_alu instid0(VALU_DEP_1) | instskip(NEXT) | instid1(SALU_CYCLE_1)
	s_and_b64 s[6:7], s[4:5], s[6:7]
	s_mul_i32 s10, s7, 24
	s_mul_hi_u32 s11, s6, 24
	s_mul_i32 s12, s6, 24
	s_add_i32 s11, s11, s10
	s_waitcnt vmcnt(0)
	v_add_co_u32 v8, vcc_lo, v4, s12
	v_add_co_ci_u32_e32 v9, vcc_lo, s11, v5, vcc_lo
	s_and_saveexec_b32 s10, s0
	s_cbranch_execz .LBB6_1184
; %bb.1183:
	v_dual_mov_b32 v10, s9 :: v_dual_mov_b32 v11, v2
	v_dual_mov_b32 v12, 2 :: v_dual_mov_b32 v13, 1
	global_store_b128 v[8:9], v[10:13], off offset:8
.LBB6_1184:
	s_or_b32 exec_lo, exec_lo, s10
	s_lshl_b64 s[6:7], s[6:7], 12
	s_mov_b32 s12, 0
	v_add_co_u32 v6, vcc_lo, v6, s6
	v_add_co_ci_u32_e32 v7, vcc_lo, s7, v7, vcc_lo
	s_mov_b32 s13, s12
	s_mov_b32 s14, s12
	;; [unrolled: 1-line block ×3, first 2 shown]
	v_and_or_b32 v0, 0xffffff1d, v0, 34
	v_dual_mov_b32 v3, v2 :: v_dual_mov_b32 v10, s12
	v_readfirstlane_b32 s6, v6
	v_readfirstlane_b32 s7, v7
	v_dual_mov_b32 v11, s13 :: v_dual_mov_b32 v12, s14
	v_mov_b32_e32 v13, s15
	s_clause 0x3
	global_store_b128 v29, v[0:3], s[6:7]
	global_store_b128 v29, v[10:13], s[6:7] offset:16
	global_store_b128 v29, v[10:13], s[6:7] offset:32
	global_store_b128 v29, v[10:13], s[6:7] offset:48
	s_and_saveexec_b32 s6, s0
	s_cbranch_execz .LBB6_1192
; %bb.1185:
	v_dual_mov_b32 v6, 0 :: v_dual_mov_b32 v11, s5
	v_mov_b32_e32 v10, s4
	s_clause 0x1
	global_load_b64 v[12:13], v6, s[2:3] offset:32 glc
	global_load_b64 v[0:1], v6, s[2:3] offset:40
	s_waitcnt vmcnt(0)
	v_readfirstlane_b32 s10, v0
	v_readfirstlane_b32 s11, v1
	s_delay_alu instid0(VALU_DEP_1) | instskip(NEXT) | instid1(SALU_CYCLE_1)
	s_and_b64 s[10:11], s[10:11], s[4:5]
	s_mul_i32 s7, s11, 24
	s_mul_hi_u32 s9, s10, 24
	s_mul_i32 s10, s10, 24
	s_add_i32 s9, s9, s7
	v_add_co_u32 v4, vcc_lo, v4, s10
	v_add_co_ci_u32_e32 v5, vcc_lo, s9, v5, vcc_lo
	s_mov_b32 s7, exec_lo
	global_store_b64 v[4:5], v[12:13], off
	s_waitcnt_vscnt null, 0x0
	global_atomic_cmpswap_b64 v[2:3], v6, v[10:13], s[2:3] offset:32 glc
	s_waitcnt vmcnt(0)
	v_cmpx_ne_u64_e64 v[2:3], v[12:13]
	s_cbranch_execz .LBB6_1188
; %bb.1186:
	s_mov_b32 s9, 0
.LBB6_1187:                             ; =>This Inner Loop Header: Depth=1
	v_dual_mov_b32 v0, s4 :: v_dual_mov_b32 v1, s5
	s_sleep 1
	global_store_b64 v[4:5], v[2:3], off
	s_waitcnt_vscnt null, 0x0
	global_atomic_cmpswap_b64 v[0:1], v6, v[0:3], s[2:3] offset:32 glc
	s_waitcnt vmcnt(0)
	v_cmp_eq_u64_e32 vcc_lo, v[0:1], v[2:3]
	v_dual_mov_b32 v3, v1 :: v_dual_mov_b32 v2, v0
	s_or_b32 s9, vcc_lo, s9
	s_delay_alu instid0(SALU_CYCLE_1)
	s_and_not1_b32 exec_lo, exec_lo, s9
	s_cbranch_execnz .LBB6_1187
.LBB6_1188:
	s_or_b32 exec_lo, exec_lo, s7
	v_mov_b32_e32 v3, 0
	s_mov_b32 s9, exec_lo
	s_mov_b32 s7, exec_lo
	v_mbcnt_lo_u32_b32 v2, s9, 0
	global_load_b64 v[0:1], v3, s[2:3] offset:16
	v_cmpx_eq_u32_e32 0, v2
	s_cbranch_execz .LBB6_1190
; %bb.1189:
	s_bcnt1_i32_b32 s9, s9
	s_delay_alu instid0(SALU_CYCLE_1)
	v_mov_b32_e32 v2, s9
	s_waitcnt vmcnt(0)
	global_atomic_add_u64 v[0:1], v[2:3], off offset:8
.LBB6_1190:
	s_or_b32 exec_lo, exec_lo, s7
	s_waitcnt vmcnt(0)
	global_load_b64 v[2:3], v[0:1], off offset:16
	s_waitcnt vmcnt(0)
	v_cmp_eq_u64_e32 vcc_lo, 0, v[2:3]
	s_cbranch_vccnz .LBB6_1192
; %bb.1191:
	global_load_b32 v0, v[0:1], off offset:24
	s_waitcnt vmcnt(0)
	v_dual_mov_b32 v1, 0 :: v_dual_and_b32 v4, 0xffffff, v0
	s_waitcnt_vscnt null, 0x0
	global_store_b64 v[2:3], v[0:1], off
	v_readfirstlane_b32 m0, v4
	s_sendmsg sendmsg(MSG_INTERRUPT)
.LBB6_1192:
	s_or_b32 exec_lo, exec_lo, s6
	s_branch .LBB6_1194
.LBB6_1193:
	s_branch .LBB6_1198
.LBB6_1194:                             ; =>This Inner Loop Header: Depth=1
	v_mov_b32_e32 v0, 1
	s_and_saveexec_b32 s6, s0
	s_cbranch_execz .LBB6_1196
; %bb.1195:                             ;   in Loop: Header=BB6_1194 Depth=1
	global_load_b32 v0, v[8:9], off offset:20 glc
	s_waitcnt vmcnt(0)
	buffer_gl1_inv
	buffer_gl0_inv
	v_and_b32_e32 v0, 1, v0
.LBB6_1196:                             ;   in Loop: Header=BB6_1194 Depth=1
	s_or_b32 exec_lo, exec_lo, s6
	s_delay_alu instid0(VALU_DEP_1) | instskip(NEXT) | instid1(VALU_DEP_1)
	v_readfirstlane_b32 s6, v0
	s_cmp_eq_u32 s6, 0
	s_cbranch_scc1 .LBB6_1193
; %bb.1197:                             ;   in Loop: Header=BB6_1194 Depth=1
	s_sleep 1
	s_cbranch_execnz .LBB6_1194
.LBB6_1198:
	s_and_saveexec_b32 s6, s0
	s_cbranch_execz .LBB6_1202
; %bb.1199:
	v_mov_b32_e32 v6, 0
	s_clause 0x2
	global_load_b64 v[2:3], v6, s[2:3] offset:40
	global_load_b64 v[7:8], v6, s[2:3] offset:24 glc
	global_load_b64 v[4:5], v6, s[2:3]
	s_waitcnt vmcnt(2)
	v_add_co_u32 v9, vcc_lo, v2, 1
	v_add_co_ci_u32_e32 v10, vcc_lo, 0, v3, vcc_lo
	s_delay_alu instid0(VALU_DEP_2) | instskip(NEXT) | instid1(VALU_DEP_2)
	v_add_co_u32 v0, vcc_lo, v9, s4
	v_add_co_ci_u32_e32 v1, vcc_lo, s5, v10, vcc_lo
	s_delay_alu instid0(VALU_DEP_1) | instskip(SKIP_1) | instid1(VALU_DEP_1)
	v_cmp_eq_u64_e32 vcc_lo, 0, v[0:1]
	v_dual_cndmask_b32 v1, v1, v10 :: v_dual_cndmask_b32 v0, v0, v9
	v_and_b32_e32 v3, v1, v3
	s_delay_alu instid0(VALU_DEP_2) | instskip(NEXT) | instid1(VALU_DEP_2)
	v_and_b32_e32 v2, v0, v2
	v_mul_lo_u32 v3, v3, 24
	s_delay_alu instid0(VALU_DEP_2) | instskip(SKIP_1) | instid1(VALU_DEP_2)
	v_mul_hi_u32 v9, v2, 24
	v_mul_lo_u32 v2, v2, 24
	v_add_nc_u32_e32 v3, v9, v3
	s_waitcnt vmcnt(0)
	s_delay_alu instid0(VALU_DEP_2) | instskip(SKIP_1) | instid1(VALU_DEP_3)
	v_add_co_u32 v4, vcc_lo, v4, v2
	v_mov_b32_e32 v2, v7
	v_add_co_ci_u32_e32 v5, vcc_lo, v5, v3, vcc_lo
	v_mov_b32_e32 v3, v8
	global_store_b64 v[4:5], v[7:8], off
	s_waitcnt_vscnt null, 0x0
	global_atomic_cmpswap_b64 v[2:3], v6, v[0:3], s[2:3] offset:24 glc
	s_waitcnt vmcnt(0)
	v_cmp_ne_u64_e32 vcc_lo, v[2:3], v[7:8]
	s_and_b32 exec_lo, exec_lo, vcc_lo
	s_cbranch_execz .LBB6_1202
; %bb.1200:
	s_mov_b32 s0, 0
.LBB6_1201:                             ; =>This Inner Loop Header: Depth=1
	s_sleep 1
	global_store_b64 v[4:5], v[2:3], off
	s_waitcnt_vscnt null, 0x0
	global_atomic_cmpswap_b64 v[7:8], v6, v[0:3], s[2:3] offset:24 glc
	s_waitcnt vmcnt(0)
	v_cmp_eq_u64_e32 vcc_lo, v[7:8], v[2:3]
	v_dual_mov_b32 v2, v7 :: v_dual_mov_b32 v3, v8
	s_or_b32 s0, vcc_lo, s0
	s_delay_alu instid0(SALU_CYCLE_1)
	s_and_not1_b32 exec_lo, exec_lo, s0
	s_cbranch_execnz .LBB6_1201
.LBB6_1202:
	s_or_b32 exec_lo, exec_lo, s6
	s_mov_b32 s35, 0
	s_mov_b32 s37, s1
.LBB6_1203:
	s_getpc_b64 s[0:1]
	s_add_u32 s0, s0, .str.29@rel32@lo+4
	s_addc_u32 s1, s1, .str.29@rel32@hi+12
	s_getpc_b64 s[2:3]
	s_add_u32 s2, s2, .str.19@rel32@lo+4
	s_addc_u32 s3, s3, .str.19@rel32@hi+12
	s_getpc_b64 s[4:5]
	s_add_u32 s4, s4, __PRETTY_FUNCTION__._ZN7VecsMemIjLi8192EE5fetchEi@rel32@lo+4
	s_addc_u32 s5, s5, __PRETTY_FUNCTION__._ZN7VecsMemIjLi8192EE5fetchEi@rel32@hi+12
	s_waitcnt vmcnt(0)
	v_dual_mov_b32 v0, s0 :: v_dual_mov_b32 v1, s1
	v_dual_mov_b32 v2, s2 :: v_dual_mov_b32 v3, s3
	;; [unrolled: 1-line block ×3, first 2 shown]
	v_mov_b32_e32 v6, s5
	s_mov_b64 s[8:9], s[44:45]
	s_getpc_b64 s[6:7]
	s_add_u32 s6, s6, __assert_fail@rel32@lo+4
	s_addc_u32 s7, s7, __assert_fail@rel32@hi+12
	s_delay_alu instid0(SALU_CYCLE_1)
	s_swappc_b64 s[30:31], s[6:7]
	s_or_b32 s0, s17, exec_lo
.LBB6_1204:
	s_or_b32 exec_lo, exec_lo, s26
	s_delay_alu instid0(SALU_CYCLE_1) | instskip(SKIP_1) | instid1(SALU_CYCLE_1)
	s_and_not1_b32 s1, s17, exec_lo
	s_and_b32 s0, s0, exec_lo
	s_or_b32 s52, s1, s0
	s_or_not1_b32 s0, s38, exec_lo
.LBB6_1205:
	s_or_b32 exec_lo, exec_lo, s27
	s_mov_b32 s1, 0
                                        ; implicit-def: $vgpr40
	s_and_saveexec_b32 s42, s0
	s_cbranch_execz .LBB6_2906
; %bb.1206:
	v_mov_b32_e32 v0, 0
	s_mov_b32 s2, 0
	s_mov_b32 s1, exec_lo
	scratch_store_b64 off, v[65:66], s33 offset:168
	v_cmpx_lt_i32_e32 0, v46
	s_cbranch_execz .LBB6_1214
; %bb.1207:
	v_mov_b32_e32 v2, v62
	v_dual_mov_b32 v0, 0 :: v_dual_mov_b32 v3, v63
	s_mov_b32 s3, 0
	s_set_inst_prefetch_distance 0x1
	s_branch .LBB6_1209
.LBB6_1208:                             ;   in Loop: Header=BB6_1209 Depth=1
	s_or_b32 exec_lo, exec_lo, s0
	flat_load_b32 v1, v[60:61] offset:4
	s_add_i32 s3, s3, 1
	v_add_co_u32 v2, s0, v2, 4
	s_delay_alu instid0(VALU_DEP_1) | instskip(SKIP_3) | instid1(SALU_CYCLE_1)
	v_add_co_ci_u32_e64 v3, s0, 0, v3, s0
	s_waitcnt vmcnt(0) lgkmcnt(0)
	v_cmp_ge_i32_e32 vcc_lo, s3, v1
	s_or_b32 s2, vcc_lo, s2
	s_and_not1_b32 exec_lo, exec_lo, s2
	s_cbranch_execz .LBB6_1213
.LBB6_1209:                             ; =>This Inner Loop Header: Depth=1
	flat_load_b32 v4, v[2:3]
	s_mov_b32 s0, exec_lo
	s_waitcnt vmcnt(0) lgkmcnt(0)
	v_cmpx_gt_i32_e32 0, v4
	s_xor_b32 s0, exec_lo, s0
	s_cbranch_execz .LBB6_1211
; %bb.1210:                             ;   in Loop: Header=BB6_1209 Depth=1
	v_and_b32_e32 v1, 0x7fffffff, v4
                                        ; implicit-def: $vgpr4
	flat_store_b32 v[2:3], v1
.LBB6_1211:                             ;   in Loop: Header=BB6_1209 Depth=1
	s_and_not1_saveexec_b32 s0, s0
	s_cbranch_execz .LBB6_1208
; %bb.1212:                             ;   in Loop: Header=BB6_1209 Depth=1
	v_ashrrev_i32_e32 v1, 31, v0
	s_delay_alu instid0(VALU_DEP_1) | instskip(SKIP_1) | instid1(VALU_DEP_2)
	v_lshlrev_b64 v[5:6], 2, v[0:1]
	v_add_nc_u32_e32 v0, 1, v0
	v_add_co_u32 v5, vcc_lo, v65, v5
	s_delay_alu instid0(VALU_DEP_3)
	v_add_co_ci_u32_e32 v6, vcc_lo, v66, v6, vcc_lo
	flat_store_b32 v[5:6], v4
	s_branch .LBB6_1208
.LBB6_1213:
	s_set_inst_prefetch_distance 0x2
	s_or_b32 exec_lo, exec_lo, s2
	scratch_store_b32 off, v0, s33 offset:164
.LBB6_1214:
	s_or_b32 exec_lo, exec_lo, s1
	s_mov_b32 s27, s52
	s_mov_b32 s0, exec_lo
	v_cmpx_ne_u32_e64 v64, v0
	s_xor_b32 s38, exec_lo, s0
	s_cbranch_execz .LBB6_1216
; %bb.1215:
	s_getpc_b64 s[0:1]
	s_add_u32 s0, s0, .str.40@rel32@lo+4
	s_addc_u32 s1, s1, .str.40@rel32@hi+12
	s_getpc_b64 s[2:3]
	s_add_u32 s2, s2, .str.31@rel32@lo+4
	s_addc_u32 s3, s3, .str.31@rel32@hi+12
	s_getpc_b64 s[4:5]
	s_add_u32 s4, s4, __PRETTY_FUNCTION__._ZN3sop17sopDivideInternalEPNS_3SopES1_S1_S1_P7VecsMemIjLi8192EE@rel32@lo+4
	s_addc_u32 s5, s5, __PRETTY_FUNCTION__._ZN3sop17sopDivideInternalEPNS_3SopES1_S1_S1_P7VecsMemIjLi8192EE@rel32@hi+12
	v_dual_mov_b32 v0, s0 :: v_dual_mov_b32 v1, s1
	v_dual_mov_b32 v2, s2 :: v_dual_mov_b32 v3, s3
	;; [unrolled: 1-line block ×3, first 2 shown]
	v_mov_b32_e32 v6, s5
	s_mov_b64 s[8:9], s[44:45]
	s_getpc_b64 s[6:7]
	s_add_u32 s6, s6, __assert_fail@rel32@lo+4
	s_addc_u32 s7, s7, __assert_fail@rel32@hi+12
	s_delay_alu instid0(SALU_CYCLE_1)
	s_swappc_b64 s[30:31], s[6:7]
	s_or_b32 s27, s52, exec_lo
                                        ; implicit-def: $vgpr53_vgpr54
                                        ; implicit-def: $vgpr46
                                        ; implicit-def: $vgpr68
                                        ; implicit-def: $vgpr69
                                        ; implicit-def: $vgpr55
                                        ; implicit-def: $vgpr67
                                        ; implicit-def: $vgpr62_vgpr63
                                        ; implicit-def: $vgpr58_vgpr59
                                        ; implicit-def: $vgpr44_vgpr45
                                        ; implicit-def: $vgpr41
                                        ; implicit-def: $vgpr60_vgpr61
.LBB6_1216:
	s_or_saveexec_b32 s0, s38
	s_mov_b32 s1, 0
                                        ; implicit-def: $vgpr40
	s_xor_b32 exec_lo, exec_lo, s0
	s_cbranch_execz .LBB6_2905
; %bb.1217:
	v_cmp_gt_i32_e32 vcc_lo, 1, v68
	v_mov_b32_e32 v2, -1
	s_mov_b32 s3, 0
	s_mov_b32 s2, exec_lo
	v_writelane_b32 v56, s0, 16
	v_cmpx_lt_i32_e32 0, v68
	s_cbranch_execz .LBB6_1221
; %bb.1218:
	v_dual_mov_b32 v0, v53 :: v_dual_mov_b32 v3, v68
	v_dual_mov_b32 v2, -1 :: v_dual_mov_b32 v1, v54
.LBB6_1219:                             ; =>This Inner Loop Header: Depth=1
	flat_load_b32 v4, v[0:1]
	v_add_nc_u32_e32 v3, -1, v3
	v_add_co_u32 v0, s0, v0, 4
	s_delay_alu instid0(VALU_DEP_1) | instskip(NEXT) | instid1(VALU_DEP_3)
	v_add_co_ci_u32_e64 v1, s0, 0, v1, s0
	v_cmp_eq_u32_e64 s1, 0, v3
	s_delay_alu instid0(VALU_DEP_1)
	s_or_b32 s3, s1, s3
	s_waitcnt vmcnt(0) lgkmcnt(0)
	v_and_b32_e32 v2, v4, v2
	s_and_not1_b32 exec_lo, exec_lo, s3
	s_cbranch_execnz .LBB6_1219
; %bb.1220:
	s_or_b32 exec_lo, exec_lo, s3
.LBB6_1221:
	s_delay_alu instid0(SALU_CYCLE_1) | instskip(SKIP_3) | instid1(VALU_DEP_1)
	s_or_b32 exec_lo, exec_lo, s2
	v_cmp_ne_u32_e64 s0, 0, v2
	s_mov_b32 s41, 0
	s_mov_b32 s38, s27
                                        ; implicit-def: $vgpr40
	s_and_saveexec_b32 s1, s0
	v_writelane_b32 v56, s23, 9
	s_xor_b32 s0, exec_lo, s1
	v_writelane_b32 v56, s25, 7
	v_writelane_b32 v56, s28, 5
	;; [unrolled: 1-line block ×9, first 2 shown]
	s_cbranch_execz .LBB6_2692
; %bb.1222:
	v_writelane_b32 v56, s0, 23
	s_mov_b32 s0, s27
	v_writelane_b32 v56, s52, 24
	v_writelane_b32 v56, s51, 25
	;; [unrolled: 1-line block ×9, first 2 shown]
	s_and_saveexec_b32 s1, vcc_lo
	s_delay_alu instid0(SALU_CYCLE_1)
	s_xor_b32 s17, exec_lo, s1
	s_cbranch_execz .LBB6_1224
; %bb.1223:
	s_getpc_b64 s[0:1]
	s_add_u32 s0, s0, .str.33@rel32@lo+4
	s_addc_u32 s1, s1, .str.33@rel32@hi+12
	s_getpc_b64 s[2:3]
	s_add_u32 s2, s2, .str.31@rel32@lo+4
	s_addc_u32 s3, s3, .str.31@rel32@hi+12
	s_getpc_b64 s[4:5]
	s_add_u32 s4, s4, __PRETTY_FUNCTION__._ZN3sop18sopCommonCubeCoverEPNS_3SopES1_P7VecsMemIjLi8192EE@rel32@lo+4
	s_addc_u32 s5, s5, __PRETTY_FUNCTION__._ZN3sop18sopCommonCubeCoverEPNS_3SopES1_P7VecsMemIjLi8192EE@rel32@hi+12
	v_dual_mov_b32 v0, s0 :: v_dual_mov_b32 v1, s1
	v_dual_mov_b32 v2, s2 :: v_dual_mov_b32 v3, s3
	;; [unrolled: 1-line block ×3, first 2 shown]
	v_mov_b32_e32 v6, s5
	s_mov_b64 s[8:9], s[44:45]
	s_getpc_b64 s[6:7]
	s_add_u32 s6, s6, __assert_fail@rel32@lo+4
	s_addc_u32 s7, s7, __assert_fail@rel32@hi+12
	s_delay_alu instid0(SALU_CYCLE_1)
	s_swappc_b64 s[30:31], s[6:7]
	s_or_b32 s0, s27, exec_lo
                                        ; implicit-def: $vgpr53_vgpr54
                                        ; implicit-def: $vgpr68
                                        ; implicit-def: $vgpr55
                                        ; implicit-def: $vgpr67
                                        ; implicit-def: $vgpr62_vgpr63
                                        ; implicit-def: $vgpr58_vgpr59
                                        ; implicit-def: $vgpr44_vgpr45
                                        ; implicit-def: $vgpr41
                                        ; implicit-def: $vgpr60_vgpr61
.LBB6_1224:
	s_or_saveexec_b32 s1, s17
	s_mov_b32 s2, 0
                                        ; implicit-def: $vgpr40
	s_xor_b32 exec_lo, exec_lo, s1
	s_cbranch_execz .LBB6_2691
; %bb.1225:
	flat_load_b32 v0, v[58:59]
	v_writelane_b32 v56, s1, 28
	s_mov_b32 s17, 0
	s_mov_b32 s18, s0
                                        ; implicit-def: $vgpr40
	v_writelane_b32 v56, s27, 22
	v_writelane_b32 v56, s0, 29
	s_mov_b32 s0, exec_lo
	s_waitcnt vmcnt(0) lgkmcnt(0)
	v_cmpx_gt_i32_e32 0x2000, v0
	s_xor_b32 s41, exec_lo, s0
	s_cbranch_execz .LBB6_2548
; %bb.1226:
	v_dual_mov_b32 v2, -1 :: v_dual_add_nc_u32 v1, 1, v0
	s_mov_b32 s1, 0
	flat_store_b32 v[58:59], v1
.LBB6_1227:                             ; =>This Inner Loop Header: Depth=1
	flat_load_b32 v1, v[53:54]
	v_add_nc_u32_e32 v68, -1, v68
	v_add_co_u32 v53, vcc_lo, v53, 4
	v_add_co_ci_u32_e32 v54, vcc_lo, 0, v54, vcc_lo
	s_delay_alu instid0(VALU_DEP_3) | instskip(NEXT) | instid1(VALU_DEP_1)
	v_cmp_eq_u32_e64 s0, 0, v68
	s_or_b32 s1, s0, s1
	s_waitcnt vmcnt(0) lgkmcnt(0)
	v_and_b32_e32 v2, v1, v2
	s_and_not1_b32 exec_lo, exec_lo, s1
	s_cbranch_execnz .LBB6_1227
; %bb.1228:
	s_or_b32 exec_lo, exec_lo, s1
	v_ashrrev_i32_e32 v1, 31, v0
	v_dual_mov_b32 v4, -1 :: v_dual_mov_b32 v3, -1
	s_mov_b32 s1, 0
	s_mov_b32 s2, 0
	s_delay_alu instid0(VALU_DEP_2) | instskip(NEXT) | instid1(VALU_DEP_1)
	v_lshlrev_b64 v[0:1], 2, v[0:1]
	v_add_co_u32 v0, vcc_lo, v55, v0
	s_delay_alu instid0(VALU_DEP_2)
	v_add_co_ci_u32_e32 v1, vcc_lo, v67, v1, vcc_lo
	flat_store_b32 v[0:1], v2
	s_set_inst_prefetch_distance 0x1
	s_branch .LBB6_1231
.LBB6_1229:                             ;   in Loop: Header=BB6_1231 Depth=1
	s_or_b32 exec_lo, exec_lo, s4
	v_max_i32_e32 v0, 1, v4
	s_delay_alu instid0(VALU_DEP_1)
	v_cmp_lt_i32_e32 vcc_lo, v0, v5
	v_cndmask_b32_e64 v3, v3, s2, vcc_lo
	v_cndmask_b32_e32 v4, v4, v5, vcc_lo
.LBB6_1230:                             ;   in Loop: Header=BB6_1231 Depth=1
	s_or_b32 exec_lo, exec_lo, s3
	s_add_i32 s2, s2, 1
	s_delay_alu instid0(SALU_CYCLE_1) | instskip(SKIP_1) | instid1(SALU_CYCLE_1)
	v_cmp_eq_u32_e32 vcc_lo, s2, v41
	s_or_b32 s1, vcc_lo, s1
	s_and_not1_b32 exec_lo, exec_lo, s1
	s_cbranch_execz .LBB6_1236
.LBB6_1231:                             ; =>This Loop Header: Depth=1
                                        ;     Child Loop BB6_1234 Depth 2
	v_lshrrev_b32_e32 v0, s2, v2
	s_mov_b32 s3, exec_lo
	s_delay_alu instid0(VALU_DEP_1) | instskip(NEXT) | instid1(VALU_DEP_1)
	v_and_b32_e32 v0, 1, v0
	v_cmpx_eq_u32_e32 1, v0
	s_cbranch_execz .LBB6_1230
; %bb.1232:                             ;   in Loop: Header=BB6_1231 Depth=1
	flat_load_b32 v6, v[60:61] offset:4
	v_mov_b32_e32 v5, 0
	s_mov_b32 s5, 0
	s_mov_b32 s4, exec_lo
	s_waitcnt vmcnt(0) lgkmcnt(0)
	v_cmpx_lt_i32_e32 0, v6
	s_cbranch_execz .LBB6_1229
; %bb.1233:                             ;   in Loop: Header=BB6_1231 Depth=1
	v_dual_mov_b32 v5, 0 :: v_dual_mov_b32 v0, v62
	v_mov_b32_e32 v1, v63
.LBB6_1234:                             ;   Parent Loop BB6_1231 Depth=1
                                        ; =>  This Inner Loop Header: Depth=2
	flat_load_b32 v7, v[0:1]
	v_add_nc_u32_e32 v6, -1, v6
	v_add_co_u32 v0, vcc_lo, v0, 4
	v_add_co_ci_u32_e32 v1, vcc_lo, 0, v1, vcc_lo
	s_delay_alu instid0(VALU_DEP_3) | instskip(NEXT) | instid1(VALU_DEP_1)
	v_cmp_eq_u32_e64 s0, 0, v6
	s_or_b32 s5, s0, s5
	s_waitcnt vmcnt(0) lgkmcnt(0)
	v_bfe_u32 v7, v7, s2, 1
	s_delay_alu instid0(VALU_DEP_1)
	v_add_nc_u32_e32 v5, v7, v5
	s_and_not1_b32 exec_lo, exec_lo, s5
	s_cbranch_execnz .LBB6_1234
; %bb.1235:                             ;   in Loop: Header=BB6_1231 Depth=1
	s_or_b32 exec_lo, exec_lo, s5
	s_branch .LBB6_1229
.LBB6_1236:
	s_set_inst_prefetch_distance 0x2
	s_or_b32 exec_lo, exec_lo, s1
	flat_load_b32 v0, v[58:59]
	v_readlane_b32 s18, v56, 29
	s_mov_b32 s17, 0
                                        ; implicit-def: $vgpr40
	s_mov_b32 s0, exec_lo
	s_waitcnt vmcnt(0) lgkmcnt(0)
	v_cmpx_gt_i32_e32 0x2000, v0
	s_xor_b32 s48, exec_lo, s0
	s_cbranch_execz .LBB6_2405
; %bb.1237:
	v_ashrrev_i32_e32 v1, 31, v0
	v_lshlrev_b32_e64 v69, v3, 1
	v_mov_b32_e32 v64, 0
	v_readlane_b32 s49, v56, 29
	s_mov_b32 s0, -1
	v_lshlrev_b64 v[1:2], 2, v[0:1]
	v_dual_mov_b32 v65, 0 :: v_dual_add_nc_u32 v0, 1, v0
	s_delay_alu instid0(VALU_DEP_2) | instskip(NEXT) | instid1(VALU_DEP_3)
	v_add_co_u32 v53, vcc_lo, v55, v1
	v_add_co_ci_u32_e32 v54, vcc_lo, v67, v2, vcc_lo
	s_clause 0x1
	flat_store_b32 v[58:59], v0
	flat_store_b32 v[53:54], v69
	flat_load_b32 v66, v[60:61] offset:4
	v_mov_b32_e32 v0, 0
	scratch_store_b32 off, v0, s33 offset:68
	s_waitcnt vmcnt(0) lgkmcnt(0)
	v_cmp_lt_i32_e64 s17, 0, v66
	s_delay_alu instid0(VALU_DEP_1)
	s_and_saveexec_b32 s18, s17
	s_cbranch_execz .LBB6_2039
; %bb.1238:
	flat_load_b32 v0, v[58:59]
	v_mov_b32_e32 v64, 0
	s_mov_b32 s19, 0
	s_mov_b32 s0, exec_lo
	s_waitcnt vmcnt(0) lgkmcnt(0)
	v_dual_mov_b32 v65, 0 :: v_dual_add_nc_u32 v0, v0, v66
	s_delay_alu instid0(VALU_DEP_1)
	v_cmpx_gt_i32_e32 0x2001, v0
	s_xor_b32 s0, exec_lo, s0
	s_cbranch_execz .LBB6_1240
; %bb.1239:
	v_ashrrev_i32_e32 v1, 31, v0
	v_mov_b32_e32 v67, 0
	s_mov_b32 s19, exec_lo
	flat_store_b32 v[58:59], v0
	v_lshlrev_b64 v[1:2], 2, v[0:1]
	v_lshlrev_b64 v[3:4], 2, v[66:67]
	s_delay_alu instid0(VALU_DEP_2) | instskip(NEXT) | instid1(VALU_DEP_3)
	v_add_co_u32 v1, vcc_lo, v58, v1
	v_add_co_ci_u32_e32 v2, vcc_lo, v59, v2, vcc_lo
	s_delay_alu instid0(VALU_DEP_2) | instskip(NEXT) | instid1(VALU_DEP_2)
	v_sub_co_u32 v1, vcc_lo, v1, v3
	v_sub_co_ci_u32_e32 v2, vcc_lo, v2, v4, vcc_lo
	s_delay_alu instid0(VALU_DEP_2) | instskip(NEXT) | instid1(VALU_DEP_2)
	v_add_co_u32 v64, vcc_lo, v1, 4
	v_add_co_ci_u32_e32 v65, vcc_lo, 0, v2, vcc_lo
.LBB6_1240:
	s_or_saveexec_b32 s20, s0
	v_readlane_b32 s0, v56, 29
	s_xor_b32 exec_lo, exec_lo, s20
	s_cbranch_execz .LBB6_2038
; %bb.1241:
	s_load_b64 s[2:3], s[44:45], 0x50
	v_mbcnt_lo_u32_b32 v29, -1, 0
	v_mov_b32_e32 v6, 0
	v_mov_b32_e32 v7, 0
	s_delay_alu instid0(VALU_DEP_3) | instskip(NEXT) | instid1(VALU_DEP_1)
	v_readfirstlane_b32 s0, v29
	v_cmp_eq_u32_e64 s0, s0, v29
	s_delay_alu instid0(VALU_DEP_1)
	s_and_saveexec_b32 s1, s0
	s_cbranch_execz .LBB6_1247
; %bb.1242:
	v_mov_b32_e32 v0, 0
	s_mov_b32 s4, exec_lo
	s_waitcnt lgkmcnt(0)
	global_load_b64 v[3:4], v0, s[2:3] offset:24 glc
	s_waitcnt vmcnt(0)
	buffer_gl1_inv
	buffer_gl0_inv
	s_clause 0x1
	global_load_b64 v[1:2], v0, s[2:3] offset:40
	global_load_b64 v[5:6], v0, s[2:3]
	s_waitcnt vmcnt(1)
	v_and_b32_e32 v1, v1, v3
	v_and_b32_e32 v2, v2, v4
	s_delay_alu instid0(VALU_DEP_2) | instskip(NEXT) | instid1(VALU_DEP_2)
	v_mul_hi_u32 v7, v1, 24
	v_mul_lo_u32 v2, v2, 24
	v_mul_lo_u32 v1, v1, 24
	s_delay_alu instid0(VALU_DEP_2) | instskip(SKIP_1) | instid1(VALU_DEP_2)
	v_add_nc_u32_e32 v2, v7, v2
	s_waitcnt vmcnt(0)
	v_add_co_u32 v1, vcc_lo, v5, v1
	s_delay_alu instid0(VALU_DEP_2)
	v_add_co_ci_u32_e32 v2, vcc_lo, v6, v2, vcc_lo
	global_load_b64 v[1:2], v[1:2], off glc
	s_waitcnt vmcnt(0)
	global_atomic_cmpswap_b64 v[6:7], v0, v[1:4], s[2:3] offset:24 glc
	s_waitcnt vmcnt(0)
	buffer_gl1_inv
	buffer_gl0_inv
	v_cmpx_ne_u64_e64 v[6:7], v[3:4]
	s_cbranch_execz .LBB6_1246
; %bb.1243:
	s_mov_b32 s5, 0
.LBB6_1244:                             ; =>This Inner Loop Header: Depth=1
	s_sleep 1
	s_clause 0x1
	global_load_b64 v[1:2], v0, s[2:3] offset:40
	global_load_b64 v[8:9], v0, s[2:3]
	v_dual_mov_b32 v3, v6 :: v_dual_mov_b32 v4, v7
	s_waitcnt vmcnt(1)
	s_delay_alu instid0(VALU_DEP_1) | instskip(NEXT) | instid1(VALU_DEP_2)
	v_and_b32_e32 v1, v1, v3
	v_and_b32_e32 v2, v2, v4
	s_waitcnt vmcnt(0)
	s_delay_alu instid0(VALU_DEP_2) | instskip(NEXT) | instid1(VALU_DEP_1)
	v_mad_u64_u32 v[5:6], null, v1, 24, v[8:9]
	v_mov_b32_e32 v1, v6
	s_delay_alu instid0(VALU_DEP_1)
	v_mad_u64_u32 v[6:7], null, v2, 24, v[1:2]
	global_load_b64 v[1:2], v[5:6], off glc
	s_waitcnt vmcnt(0)
	global_atomic_cmpswap_b64 v[6:7], v0, v[1:4], s[2:3] offset:24 glc
	s_waitcnt vmcnt(0)
	buffer_gl1_inv
	buffer_gl0_inv
	v_cmp_eq_u64_e32 vcc_lo, v[6:7], v[3:4]
	s_or_b32 s5, vcc_lo, s5
	s_delay_alu instid0(SALU_CYCLE_1)
	s_and_not1_b32 exec_lo, exec_lo, s5
	s_cbranch_execnz .LBB6_1244
; %bb.1245:
	s_or_b32 exec_lo, exec_lo, s5
.LBB6_1246:
	s_delay_alu instid0(SALU_CYCLE_1)
	s_or_b32 exec_lo, exec_lo, s4
.LBB6_1247:
	s_delay_alu instid0(SALU_CYCLE_1)
	s_or_b32 exec_lo, exec_lo, s1
	v_mov_b32_e32 v5, 0
	v_readfirstlane_b32 s4, v6
	v_readfirstlane_b32 s5, v7
	s_mov_b32 s1, exec_lo
	s_waitcnt lgkmcnt(0)
	s_clause 0x1
	global_load_b64 v[8:9], v5, s[2:3] offset:40
	global_load_b128 v[0:3], v5, s[2:3]
	s_waitcnt vmcnt(1)
	v_readfirstlane_b32 s6, v8
	v_readfirstlane_b32 s7, v9
	s_delay_alu instid0(VALU_DEP_1) | instskip(NEXT) | instid1(SALU_CYCLE_1)
	s_and_b64 s[6:7], s[4:5], s[6:7]
	s_mul_i32 s8, s7, 24
	s_mul_hi_u32 s9, s6, 24
	s_mul_i32 s10, s6, 24
	s_add_i32 s9, s9, s8
	s_waitcnt vmcnt(0)
	v_add_co_u32 v8, vcc_lo, v0, s10
	v_add_co_ci_u32_e32 v9, vcc_lo, s9, v1, vcc_lo
	s_and_saveexec_b32 s8, s0
	s_cbranch_execz .LBB6_1249
; %bb.1248:
	v_dual_mov_b32 v4, s1 :: v_dual_mov_b32 v7, 1
	v_mov_b32_e32 v6, 2
	global_store_b128 v[8:9], v[4:7], off offset:8
.LBB6_1249:
	s_or_b32 exec_lo, exec_lo, s8
	s_lshl_b64 s[6:7], s[6:7], 12
	v_dual_mov_b32 v7, v5 :: v_dual_lshlrev_b32 v28, 6, v29
	v_add_co_u32 v2, vcc_lo, v2, s6
	v_add_co_ci_u32_e32 v3, vcc_lo, s7, v3, vcc_lo
	s_mov_b32 s8, 0
	s_delay_alu instid0(VALU_DEP_2)
	v_add_co_u32 v10, vcc_lo, v2, v28
	s_mov_b32 s11, s8
	s_mov_b32 s9, s8
	;; [unrolled: 1-line block ×3, first 2 shown]
	v_dual_mov_b32 v4, 33 :: v_dual_mov_b32 v15, s11
	v_dual_mov_b32 v6, v5 :: v_dual_mov_b32 v13, s9
	v_readfirstlane_b32 s6, v2
	v_readfirstlane_b32 s7, v3
	v_add_co_ci_u32_e32 v11, vcc_lo, 0, v3, vcc_lo
	v_mov_b32_e32 v14, s10
	v_mov_b32_e32 v12, s8
	s_clause 0x3
	global_store_b128 v28, v[4:7], s[6:7]
	global_store_b128 v28, v[12:15], s[6:7] offset:16
	global_store_b128 v28, v[12:15], s[6:7] offset:32
	;; [unrolled: 1-line block ×3, first 2 shown]
	s_and_saveexec_b32 s1, s0
	s_cbranch_execz .LBB6_1257
; %bb.1250:
	v_mov_b32_e32 v6, 0
	s_mov_b32 s6, exec_lo
	s_clause 0x1
	global_load_b64 v[14:15], v6, s[2:3] offset:32 glc
	global_load_b64 v[2:3], v6, s[2:3] offset:40
	v_dual_mov_b32 v13, s5 :: v_dual_mov_b32 v12, s4
	s_waitcnt vmcnt(0)
	v_and_b32_e32 v3, s5, v3
	v_and_b32_e32 v2, s4, v2
	s_delay_alu instid0(VALU_DEP_2) | instskip(NEXT) | instid1(VALU_DEP_2)
	v_mul_lo_u32 v3, v3, 24
	v_mul_hi_u32 v4, v2, 24
	v_mul_lo_u32 v2, v2, 24
	s_delay_alu instid0(VALU_DEP_2) | instskip(NEXT) | instid1(VALU_DEP_2)
	v_add_nc_u32_e32 v3, v4, v3
	v_add_co_u32 v4, vcc_lo, v0, v2
	s_delay_alu instid0(VALU_DEP_2)
	v_add_co_ci_u32_e32 v5, vcc_lo, v1, v3, vcc_lo
	global_store_b64 v[4:5], v[14:15], off
	s_waitcnt_vscnt null, 0x0
	global_atomic_cmpswap_b64 v[2:3], v6, v[12:15], s[2:3] offset:32 glc
	s_waitcnt vmcnt(0)
	v_cmpx_ne_u64_e64 v[2:3], v[14:15]
	s_cbranch_execz .LBB6_1253
; %bb.1251:
	s_mov_b32 s7, 0
.LBB6_1252:                             ; =>This Inner Loop Header: Depth=1
	v_dual_mov_b32 v0, s4 :: v_dual_mov_b32 v1, s5
	s_sleep 1
	global_store_b64 v[4:5], v[2:3], off
	s_waitcnt_vscnt null, 0x0
	global_atomic_cmpswap_b64 v[0:1], v6, v[0:3], s[2:3] offset:32 glc
	s_waitcnt vmcnt(0)
	v_cmp_eq_u64_e32 vcc_lo, v[0:1], v[2:3]
	v_dual_mov_b32 v3, v1 :: v_dual_mov_b32 v2, v0
	s_or_b32 s7, vcc_lo, s7
	s_delay_alu instid0(SALU_CYCLE_1)
	s_and_not1_b32 exec_lo, exec_lo, s7
	s_cbranch_execnz .LBB6_1252
.LBB6_1253:
	s_or_b32 exec_lo, exec_lo, s6
	v_mov_b32_e32 v3, 0
	s_mov_b32 s7, exec_lo
	s_mov_b32 s6, exec_lo
	v_mbcnt_lo_u32_b32 v2, s7, 0
	global_load_b64 v[0:1], v3, s[2:3] offset:16
	v_cmpx_eq_u32_e32 0, v2
	s_cbranch_execz .LBB6_1255
; %bb.1254:
	s_bcnt1_i32_b32 s7, s7
	s_delay_alu instid0(SALU_CYCLE_1)
	v_mov_b32_e32 v2, s7
	s_waitcnt vmcnt(0)
	global_atomic_add_u64 v[0:1], v[2:3], off offset:8
.LBB6_1255:
	s_or_b32 exec_lo, exec_lo, s6
	s_waitcnt vmcnt(0)
	global_load_b64 v[2:3], v[0:1], off offset:16
	s_waitcnt vmcnt(0)
	v_cmp_eq_u64_e32 vcc_lo, 0, v[2:3]
	s_cbranch_vccnz .LBB6_1257
; %bb.1256:
	global_load_b32 v0, v[0:1], off offset:24
	s_waitcnt vmcnt(0)
	v_dual_mov_b32 v1, 0 :: v_dual_and_b32 v4, 0xffffff, v0
	s_waitcnt_vscnt null, 0x0
	global_store_b64 v[2:3], v[0:1], off
	v_readfirstlane_b32 m0, v4
	s_sendmsg sendmsg(MSG_INTERRUPT)
.LBB6_1257:
	s_or_b32 exec_lo, exec_lo, s1
	s_branch .LBB6_1259
.LBB6_1258:
	s_branch .LBB6_1263
.LBB6_1259:                             ; =>This Inner Loop Header: Depth=1
	v_mov_b32_e32 v0, 1
	s_and_saveexec_b32 s1, s0
	s_cbranch_execz .LBB6_1261
; %bb.1260:                             ;   in Loop: Header=BB6_1259 Depth=1
	global_load_b32 v0, v[8:9], off offset:20 glc
	s_waitcnt vmcnt(0)
	buffer_gl1_inv
	buffer_gl0_inv
	v_and_b32_e32 v0, 1, v0
.LBB6_1261:                             ;   in Loop: Header=BB6_1259 Depth=1
	s_or_b32 exec_lo, exec_lo, s1
	s_delay_alu instid0(VALU_DEP_1) | instskip(NEXT) | instid1(VALU_DEP_1)
	v_readfirstlane_b32 s1, v0
	s_cmp_eq_u32 s1, 0
	s_cbranch_scc1 .LBB6_1258
; %bb.1262:                             ;   in Loop: Header=BB6_1259 Depth=1
	s_sleep 1
	s_cbranch_execnz .LBB6_1259
.LBB6_1263:
	global_load_b64 v[0:1], v[10:11], off
	s_and_saveexec_b32 s1, s0
	s_cbranch_execz .LBB6_1267
; %bb.1264:
	v_mov_b32_e32 v8, 0
	s_clause 0x2
	global_load_b64 v[4:5], v8, s[2:3] offset:40
	global_load_b64 v[9:10], v8, s[2:3] offset:24 glc
	global_load_b64 v[6:7], v8, s[2:3]
	s_waitcnt vmcnt(2)
	v_add_co_u32 v11, vcc_lo, v4, 1
	v_add_co_ci_u32_e32 v12, vcc_lo, 0, v5, vcc_lo
	s_delay_alu instid0(VALU_DEP_2) | instskip(NEXT) | instid1(VALU_DEP_2)
	v_add_co_u32 v2, vcc_lo, v11, s4
	v_add_co_ci_u32_e32 v3, vcc_lo, s5, v12, vcc_lo
	s_delay_alu instid0(VALU_DEP_1) | instskip(SKIP_1) | instid1(VALU_DEP_1)
	v_cmp_eq_u64_e32 vcc_lo, 0, v[2:3]
	v_dual_cndmask_b32 v3, v3, v12 :: v_dual_cndmask_b32 v2, v2, v11
	v_and_b32_e32 v5, v3, v5
	s_delay_alu instid0(VALU_DEP_2) | instskip(NEXT) | instid1(VALU_DEP_2)
	v_and_b32_e32 v4, v2, v4
	v_mul_lo_u32 v5, v5, 24
	s_delay_alu instid0(VALU_DEP_2) | instskip(SKIP_1) | instid1(VALU_DEP_2)
	v_mul_hi_u32 v11, v4, 24
	v_mul_lo_u32 v4, v4, 24
	v_add_nc_u32_e32 v5, v11, v5
	s_waitcnt vmcnt(0)
	s_delay_alu instid0(VALU_DEP_2) | instskip(SKIP_1) | instid1(VALU_DEP_3)
	v_add_co_u32 v6, vcc_lo, v6, v4
	v_mov_b32_e32 v4, v9
	v_add_co_ci_u32_e32 v7, vcc_lo, v7, v5, vcc_lo
	v_mov_b32_e32 v5, v10
	global_store_b64 v[6:7], v[9:10], off
	s_waitcnt_vscnt null, 0x0
	global_atomic_cmpswap_b64 v[4:5], v8, v[2:5], s[2:3] offset:24 glc
	s_waitcnt vmcnt(0)
	v_cmp_ne_u64_e32 vcc_lo, v[4:5], v[9:10]
	s_and_b32 exec_lo, exec_lo, vcc_lo
	s_cbranch_execz .LBB6_1267
; %bb.1265:
	s_mov_b32 s0, 0
.LBB6_1266:                             ; =>This Inner Loop Header: Depth=1
	s_sleep 1
	global_store_b64 v[6:7], v[4:5], off
	s_waitcnt_vscnt null, 0x0
	global_atomic_cmpswap_b64 v[9:10], v8, v[2:5], s[2:3] offset:24 glc
	s_waitcnt vmcnt(0)
	v_cmp_eq_u64_e32 vcc_lo, v[9:10], v[4:5]
	v_dual_mov_b32 v4, v9 :: v_dual_mov_b32 v5, v10
	s_or_b32 s0, vcc_lo, s0
	s_delay_alu instid0(SALU_CYCLE_1)
	s_and_not1_b32 exec_lo, exec_lo, s0
	s_cbranch_execnz .LBB6_1266
.LBB6_1267:
	s_or_b32 exec_lo, exec_lo, s1
	s_getpc_b64 s[4:5]
	s_add_u32 s4, s4, .str.28@rel32@lo+4
	s_addc_u32 s5, s5, .str.28@rel32@hi+12
	s_delay_alu instid0(SALU_CYCLE_1)
	s_cmp_lg_u64 s[4:5], 0
	s_cbranch_scc0 .LBB6_2008
; %bb.1268:
	s_waitcnt vmcnt(0)
	v_dual_mov_b32 v7, v1 :: v_dual_and_b32 v6, -3, v0
	v_dual_mov_b32 v3, 0 :: v_dual_mov_b32 v4, 2
	v_mov_b32_e32 v5, 1
	s_mov_b64 s[6:7], 35
	s_branch .LBB6_1270
.LBB6_1269:                             ;   in Loop: Header=BB6_1270 Depth=1
	s_or_b32 exec_lo, exec_lo, s1
	s_sub_u32 s6, s6, s8
	s_subb_u32 s7, s7, s9
	s_add_u32 s4, s4, s8
	s_addc_u32 s5, s5, s9
	s_cmp_lg_u64 s[6:7], 0
	s_cbranch_scc0 .LBB6_2007
.LBB6_1270:                             ; =>This Loop Header: Depth=1
                                        ;     Child Loop BB6_1273 Depth 2
                                        ;     Child Loop BB6_1278 Depth 2
	;; [unrolled: 1-line block ×11, first 2 shown]
	v_cmp_lt_u64_e64 s0, s[6:7], 56
	v_cmp_gt_u64_e64 s1, s[6:7], 7
                                        ; implicit-def: $sgpr14
	s_delay_alu instid0(VALU_DEP_2) | instskip(SKIP_2) | instid1(VALU_DEP_1)
	s_and_b32 s0, s0, exec_lo
	s_cselect_b32 s9, s7, 0
	s_cselect_b32 s8, s6, 56
	s_and_b32 vcc_lo, exec_lo, s1
	s_mov_b32 s0, -1
	s_cbranch_vccnz .LBB6_1280
; %bb.1271:                             ;   in Loop: Header=BB6_1270 Depth=1
	s_waitcnt vmcnt(0)
	v_mov_b32_e32 v8, 0
	v_mov_b32_e32 v9, 0
	s_cmp_eq_u64 s[6:7], 0
	s_mov_b64 s[0:1], 0
	s_cbranch_scc1 .LBB6_1274
; %bb.1272:                             ;   in Loop: Header=BB6_1270 Depth=1
	v_mov_b32_e32 v8, 0
	v_mov_b32_e32 v9, 0
	s_lshl_b64 s[10:11], s[8:9], 3
	s_mov_b64 s[12:13], s[4:5]
.LBB6_1273:                             ;   Parent Loop BB6_1270 Depth=1
                                        ; =>  This Inner Loop Header: Depth=2
	global_load_u8 v2, v3, s[12:13]
	s_waitcnt vmcnt(0)
	v_and_b32_e32 v2, 0xffff, v2
	s_delay_alu instid0(VALU_DEP_1)
	v_lshlrev_b64 v[10:11], s0, v[2:3]
	s_add_u32 s0, s0, 8
	s_addc_u32 s1, s1, 0
	s_add_u32 s12, s12, 1
	s_addc_u32 s13, s13, 0
	s_cmp_lg_u32 s10, s0
	v_or_b32_e32 v8, v10, v8
	v_or_b32_e32 v9, v11, v9
	s_cbranch_scc1 .LBB6_1273
.LBB6_1274:                             ;   in Loop: Header=BB6_1270 Depth=1
	s_mov_b32 s14, 0
	s_mov_b64 s[0:1], s[4:5]
	s_cbranch_execz .LBB6_1281
.LBB6_1275:                             ;   in Loop: Header=BB6_1270 Depth=1
	s_cmp_gt_u32 s14, 7
	s_cbranch_scc1 .LBB6_1282
.LBB6_1276:                             ;   in Loop: Header=BB6_1270 Depth=1
	v_mov_b32_e32 v10, 0
	v_mov_b32_e32 v11, 0
	s_cmp_eq_u32 s14, 0
	s_cbranch_scc1 .LBB6_1279
; %bb.1277:                             ;   in Loop: Header=BB6_1270 Depth=1
	s_mov_b64 s[10:11], 0
	s_mov_b64 s[12:13], 0
.LBB6_1278:                             ;   Parent Loop BB6_1270 Depth=1
                                        ; =>  This Inner Loop Header: Depth=2
	s_delay_alu instid0(SALU_CYCLE_1)
	s_add_u32 s22, s0, s12
	s_addc_u32 s23, s1, s13
	s_add_u32 s12, s12, 1
	global_load_u8 v2, v3, s[22:23]
	s_addc_u32 s13, s13, 0
	s_waitcnt vmcnt(0)
	v_and_b32_e32 v2, 0xffff, v2
	s_delay_alu instid0(VALU_DEP_1) | instskip(SKIP_3) | instid1(VALU_DEP_1)
	v_lshlrev_b64 v[12:13], s10, v[2:3]
	s_add_u32 s10, s10, 8
	s_addc_u32 s11, s11, 0
	s_cmp_lg_u32 s14, s12
	v_or_b32_e32 v10, v12, v10
	s_delay_alu instid0(VALU_DEP_2)
	v_or_b32_e32 v11, v13, v11
	s_cbranch_scc1 .LBB6_1278
.LBB6_1279:                             ;   in Loop: Header=BB6_1270 Depth=1
	s_mov_b32 s10, 0
	s_mov_b32 s15, 0
	s_branch .LBB6_1283
.LBB6_1280:                             ;   in Loop: Header=BB6_1270 Depth=1
	s_and_not1_b32 vcc_lo, exec_lo, s0
	s_mov_b64 s[0:1], s[4:5]
	s_cbranch_vccnz .LBB6_1275
.LBB6_1281:                             ;   in Loop: Header=BB6_1270 Depth=1
	global_load_b64 v[8:9], v3, s[4:5]
	s_add_i32 s14, s8, -8
	s_add_u32 s0, s4, 8
	s_addc_u32 s1, s5, 0
	s_cmp_gt_u32 s14, 7
	s_cbranch_scc0 .LBB6_1276
.LBB6_1282:                             ;   in Loop: Header=BB6_1270 Depth=1
	s_mov_b32 s10, -1
                                        ; implicit-def: $vgpr10_vgpr11
                                        ; implicit-def: $sgpr15
.LBB6_1283:                             ;   in Loop: Header=BB6_1270 Depth=1
	s_delay_alu instid0(SALU_CYCLE_1)
	s_and_not1_b32 vcc_lo, exec_lo, s10
	s_cbranch_vccnz .LBB6_1285
; %bb.1284:                             ;   in Loop: Header=BB6_1270 Depth=1
	global_load_b64 v[10:11], v3, s[0:1]
	s_add_i32 s15, s14, -8
	s_add_u32 s0, s0, 8
	s_addc_u32 s1, s1, 0
.LBB6_1285:                             ;   in Loop: Header=BB6_1270 Depth=1
	s_cmp_gt_u32 s15, 7
	s_cbranch_scc1 .LBB6_1290
; %bb.1286:                             ;   in Loop: Header=BB6_1270 Depth=1
	v_mov_b32_e32 v12, 0
	v_mov_b32_e32 v13, 0
	s_cmp_eq_u32 s15, 0
	s_cbranch_scc1 .LBB6_1289
; %bb.1287:                             ;   in Loop: Header=BB6_1270 Depth=1
	s_mov_b64 s[10:11], 0
	s_mov_b64 s[12:13], 0
.LBB6_1288:                             ;   Parent Loop BB6_1270 Depth=1
                                        ; =>  This Inner Loop Header: Depth=2
	s_delay_alu instid0(SALU_CYCLE_1)
	s_add_u32 s22, s0, s12
	s_addc_u32 s23, s1, s13
	s_add_u32 s12, s12, 1
	global_load_u8 v2, v3, s[22:23]
	s_addc_u32 s13, s13, 0
	s_waitcnt vmcnt(0)
	v_and_b32_e32 v2, 0xffff, v2
	s_delay_alu instid0(VALU_DEP_1) | instskip(SKIP_3) | instid1(VALU_DEP_1)
	v_lshlrev_b64 v[14:15], s10, v[2:3]
	s_add_u32 s10, s10, 8
	s_addc_u32 s11, s11, 0
	s_cmp_lg_u32 s15, s12
	v_or_b32_e32 v12, v14, v12
	s_delay_alu instid0(VALU_DEP_2)
	v_or_b32_e32 v13, v15, v13
	s_cbranch_scc1 .LBB6_1288
.LBB6_1289:                             ;   in Loop: Header=BB6_1270 Depth=1
	s_mov_b32 s10, 0
	s_mov_b32 s14, 0
	s_branch .LBB6_1291
.LBB6_1290:                             ;   in Loop: Header=BB6_1270 Depth=1
	s_mov_b32 s10, -1
                                        ; implicit-def: $sgpr14
.LBB6_1291:                             ;   in Loop: Header=BB6_1270 Depth=1
	s_delay_alu instid0(SALU_CYCLE_1)
	s_and_not1_b32 vcc_lo, exec_lo, s10
	s_cbranch_vccnz .LBB6_1293
; %bb.1292:                             ;   in Loop: Header=BB6_1270 Depth=1
	global_load_b64 v[12:13], v3, s[0:1]
	s_add_i32 s14, s15, -8
	s_add_u32 s0, s0, 8
	s_addc_u32 s1, s1, 0
.LBB6_1293:                             ;   in Loop: Header=BB6_1270 Depth=1
	s_cmp_gt_u32 s14, 7
	s_cbranch_scc1 .LBB6_1298
; %bb.1294:                             ;   in Loop: Header=BB6_1270 Depth=1
	v_mov_b32_e32 v14, 0
	v_mov_b32_e32 v15, 0
	s_cmp_eq_u32 s14, 0
	s_cbranch_scc1 .LBB6_1297
; %bb.1295:                             ;   in Loop: Header=BB6_1270 Depth=1
	s_mov_b64 s[10:11], 0
	s_mov_b64 s[12:13], 0
.LBB6_1296:                             ;   Parent Loop BB6_1270 Depth=1
                                        ; =>  This Inner Loop Header: Depth=2
	s_delay_alu instid0(SALU_CYCLE_1)
	s_add_u32 s22, s0, s12
	s_addc_u32 s23, s1, s13
	s_add_u32 s12, s12, 1
	global_load_u8 v2, v3, s[22:23]
	s_addc_u32 s13, s13, 0
	s_waitcnt vmcnt(0)
	v_and_b32_e32 v2, 0xffff, v2
	s_delay_alu instid0(VALU_DEP_1) | instskip(SKIP_3) | instid1(VALU_DEP_1)
	v_lshlrev_b64 v[16:17], s10, v[2:3]
	s_add_u32 s10, s10, 8
	s_addc_u32 s11, s11, 0
	s_cmp_lg_u32 s14, s12
	v_or_b32_e32 v14, v16, v14
	s_delay_alu instid0(VALU_DEP_2)
	v_or_b32_e32 v15, v17, v15
	s_cbranch_scc1 .LBB6_1296
.LBB6_1297:                             ;   in Loop: Header=BB6_1270 Depth=1
	s_mov_b32 s10, 0
	s_mov_b32 s15, 0
	s_branch .LBB6_1299
.LBB6_1298:                             ;   in Loop: Header=BB6_1270 Depth=1
	s_mov_b32 s10, -1
                                        ; implicit-def: $vgpr14_vgpr15
                                        ; implicit-def: $sgpr15
.LBB6_1299:                             ;   in Loop: Header=BB6_1270 Depth=1
	s_delay_alu instid0(SALU_CYCLE_1)
	s_and_not1_b32 vcc_lo, exec_lo, s10
	s_cbranch_vccnz .LBB6_1301
; %bb.1300:                             ;   in Loop: Header=BB6_1270 Depth=1
	global_load_b64 v[14:15], v3, s[0:1]
	s_add_i32 s15, s14, -8
	s_add_u32 s0, s0, 8
	s_addc_u32 s1, s1, 0
.LBB6_1301:                             ;   in Loop: Header=BB6_1270 Depth=1
	s_cmp_gt_u32 s15, 7
	s_cbranch_scc1 .LBB6_1306
; %bb.1302:                             ;   in Loop: Header=BB6_1270 Depth=1
	v_mov_b32_e32 v16, 0
	v_mov_b32_e32 v17, 0
	s_cmp_eq_u32 s15, 0
	s_cbranch_scc1 .LBB6_1305
; %bb.1303:                             ;   in Loop: Header=BB6_1270 Depth=1
	s_mov_b64 s[10:11], 0
	s_mov_b64 s[12:13], 0
.LBB6_1304:                             ;   Parent Loop BB6_1270 Depth=1
                                        ; =>  This Inner Loop Header: Depth=2
	s_delay_alu instid0(SALU_CYCLE_1)
	s_add_u32 s22, s0, s12
	s_addc_u32 s23, s1, s13
	s_add_u32 s12, s12, 1
	global_load_u8 v2, v3, s[22:23]
	s_addc_u32 s13, s13, 0
	s_waitcnt vmcnt(0)
	v_and_b32_e32 v2, 0xffff, v2
	s_delay_alu instid0(VALU_DEP_1) | instskip(SKIP_3) | instid1(VALU_DEP_1)
	v_lshlrev_b64 v[18:19], s10, v[2:3]
	s_add_u32 s10, s10, 8
	s_addc_u32 s11, s11, 0
	s_cmp_lg_u32 s15, s12
	v_or_b32_e32 v16, v18, v16
	s_delay_alu instid0(VALU_DEP_2)
	v_or_b32_e32 v17, v19, v17
	s_cbranch_scc1 .LBB6_1304
.LBB6_1305:                             ;   in Loop: Header=BB6_1270 Depth=1
	s_mov_b32 s10, 0
	s_mov_b32 s14, 0
	s_branch .LBB6_1307
.LBB6_1306:                             ;   in Loop: Header=BB6_1270 Depth=1
	s_mov_b32 s10, -1
                                        ; implicit-def: $sgpr14
.LBB6_1307:                             ;   in Loop: Header=BB6_1270 Depth=1
	s_delay_alu instid0(SALU_CYCLE_1)
	s_and_not1_b32 vcc_lo, exec_lo, s10
	s_cbranch_vccnz .LBB6_1309
; %bb.1308:                             ;   in Loop: Header=BB6_1270 Depth=1
	global_load_b64 v[16:17], v3, s[0:1]
	s_add_i32 s14, s15, -8
	s_add_u32 s0, s0, 8
	s_addc_u32 s1, s1, 0
.LBB6_1309:                             ;   in Loop: Header=BB6_1270 Depth=1
	s_cmp_gt_u32 s14, 7
	s_cbranch_scc1 .LBB6_1314
; %bb.1310:                             ;   in Loop: Header=BB6_1270 Depth=1
	v_mov_b32_e32 v18, 0
	v_mov_b32_e32 v19, 0
	s_cmp_eq_u32 s14, 0
	s_cbranch_scc1 .LBB6_1313
; %bb.1311:                             ;   in Loop: Header=BB6_1270 Depth=1
	s_mov_b64 s[10:11], 0
	s_mov_b64 s[12:13], 0
.LBB6_1312:                             ;   Parent Loop BB6_1270 Depth=1
                                        ; =>  This Inner Loop Header: Depth=2
	s_delay_alu instid0(SALU_CYCLE_1)
	s_add_u32 s22, s0, s12
	s_addc_u32 s23, s1, s13
	s_add_u32 s12, s12, 1
	global_load_u8 v2, v3, s[22:23]
	s_addc_u32 s13, s13, 0
	s_waitcnt vmcnt(0)
	v_and_b32_e32 v2, 0xffff, v2
	s_delay_alu instid0(VALU_DEP_1) | instskip(SKIP_3) | instid1(VALU_DEP_1)
	v_lshlrev_b64 v[20:21], s10, v[2:3]
	s_add_u32 s10, s10, 8
	s_addc_u32 s11, s11, 0
	s_cmp_lg_u32 s14, s12
	v_or_b32_e32 v18, v20, v18
	s_delay_alu instid0(VALU_DEP_2)
	v_or_b32_e32 v19, v21, v19
	s_cbranch_scc1 .LBB6_1312
.LBB6_1313:                             ;   in Loop: Header=BB6_1270 Depth=1
	s_mov_b32 s10, 0
	s_mov_b32 s15, 0
	s_branch .LBB6_1315
.LBB6_1314:                             ;   in Loop: Header=BB6_1270 Depth=1
	s_mov_b32 s10, -1
                                        ; implicit-def: $vgpr18_vgpr19
                                        ; implicit-def: $sgpr15
.LBB6_1315:                             ;   in Loop: Header=BB6_1270 Depth=1
	s_delay_alu instid0(SALU_CYCLE_1)
	s_and_not1_b32 vcc_lo, exec_lo, s10
	s_cbranch_vccnz .LBB6_1317
; %bb.1316:                             ;   in Loop: Header=BB6_1270 Depth=1
	global_load_b64 v[18:19], v3, s[0:1]
	s_add_i32 s15, s14, -8
	s_add_u32 s0, s0, 8
	s_addc_u32 s1, s1, 0
.LBB6_1317:                             ;   in Loop: Header=BB6_1270 Depth=1
	s_cmp_gt_u32 s15, 7
	s_cbranch_scc1 .LBB6_1322
; %bb.1318:                             ;   in Loop: Header=BB6_1270 Depth=1
	v_mov_b32_e32 v20, 0
	v_mov_b32_e32 v21, 0
	s_cmp_eq_u32 s15, 0
	s_cbranch_scc1 .LBB6_1321
; %bb.1319:                             ;   in Loop: Header=BB6_1270 Depth=1
	s_mov_b64 s[10:11], 0
	s_mov_b64 s[12:13], s[0:1]
.LBB6_1320:                             ;   Parent Loop BB6_1270 Depth=1
                                        ; =>  This Inner Loop Header: Depth=2
	global_load_u8 v2, v3, s[12:13]
	s_add_i32 s15, s15, -1
	s_waitcnt vmcnt(0)
	v_and_b32_e32 v2, 0xffff, v2
	s_delay_alu instid0(VALU_DEP_1)
	v_lshlrev_b64 v[22:23], s10, v[2:3]
	s_add_u32 s10, s10, 8
	s_addc_u32 s11, s11, 0
	s_add_u32 s12, s12, 1
	s_addc_u32 s13, s13, 0
	s_cmp_lg_u32 s15, 0
	v_or_b32_e32 v20, v22, v20
	v_or_b32_e32 v21, v23, v21
	s_cbranch_scc1 .LBB6_1320
.LBB6_1321:                             ;   in Loop: Header=BB6_1270 Depth=1
	s_mov_b32 s10, 0
	s_branch .LBB6_1323
.LBB6_1322:                             ;   in Loop: Header=BB6_1270 Depth=1
	s_mov_b32 s10, -1
.LBB6_1323:                             ;   in Loop: Header=BB6_1270 Depth=1
	s_delay_alu instid0(SALU_CYCLE_1)
	s_and_not1_b32 vcc_lo, exec_lo, s10
	s_cbranch_vccnz .LBB6_1325
; %bb.1324:                             ;   in Loop: Header=BB6_1270 Depth=1
	global_load_b64 v[20:21], v3, s[0:1]
.LBB6_1325:                             ;   in Loop: Header=BB6_1270 Depth=1
	v_readfirstlane_b32 s0, v29
	v_mov_b32_e32 v26, 0
	v_mov_b32_e32 v27, 0
	s_delay_alu instid0(VALU_DEP_3) | instskip(NEXT) | instid1(VALU_DEP_1)
	v_cmp_eq_u32_e64 s0, s0, v29
	s_and_saveexec_b32 s1, s0
	s_cbranch_execz .LBB6_1331
; %bb.1326:                             ;   in Loop: Header=BB6_1270 Depth=1
	global_load_b64 v[24:25], v3, s[2:3] offset:24 glc
	s_waitcnt vmcnt(0)
	buffer_gl1_inv
	buffer_gl0_inv
	s_clause 0x1
	global_load_b64 v[22:23], v3, s[2:3] offset:40
	global_load_b64 v[26:27], v3, s[2:3]
	s_mov_b32 s10, exec_lo
	s_waitcnt vmcnt(1)
	v_and_b32_e32 v2, v23, v25
	v_and_b32_e32 v22, v22, v24
	s_delay_alu instid0(VALU_DEP_2) | instskip(NEXT) | instid1(VALU_DEP_2)
	v_mul_lo_u32 v2, v2, 24
	v_mul_hi_u32 v23, v22, 24
	v_mul_lo_u32 v22, v22, 24
	s_delay_alu instid0(VALU_DEP_2) | instskip(SKIP_1) | instid1(VALU_DEP_2)
	v_add_nc_u32_e32 v2, v23, v2
	s_waitcnt vmcnt(0)
	v_add_co_u32 v22, vcc_lo, v26, v22
	s_delay_alu instid0(VALU_DEP_2)
	v_add_co_ci_u32_e32 v23, vcc_lo, v27, v2, vcc_lo
	global_load_b64 v[22:23], v[22:23], off glc
	s_waitcnt vmcnt(0)
	global_atomic_cmpswap_b64 v[26:27], v3, v[22:25], s[2:3] offset:24 glc
	s_waitcnt vmcnt(0)
	buffer_gl1_inv
	buffer_gl0_inv
	v_cmpx_ne_u64_e64 v[26:27], v[24:25]
	s_cbranch_execz .LBB6_1330
; %bb.1327:                             ;   in Loop: Header=BB6_1270 Depth=1
	s_mov_b32 s11, 0
.LBB6_1328:                             ;   Parent Loop BB6_1270 Depth=1
                                        ; =>  This Inner Loop Header: Depth=2
	s_sleep 1
	s_clause 0x1
	global_load_b64 v[22:23], v3, s[2:3] offset:40
	global_load_b64 v[30:31], v3, s[2:3]
	v_dual_mov_b32 v24, v26 :: v_dual_mov_b32 v25, v27
	s_waitcnt vmcnt(1)
	s_delay_alu instid0(VALU_DEP_1) | instskip(SKIP_1) | instid1(VALU_DEP_1)
	v_and_b32_e32 v2, v22, v24
	s_waitcnt vmcnt(0)
	v_mad_u64_u32 v[26:27], null, v2, 24, v[30:31]
	v_and_b32_e32 v30, v23, v25
	s_delay_alu instid0(VALU_DEP_2) | instskip(NEXT) | instid1(VALU_DEP_1)
	v_mov_b32_e32 v2, v27
	v_mad_u64_u32 v[22:23], null, v30, 24, v[2:3]
	s_delay_alu instid0(VALU_DEP_1)
	v_mov_b32_e32 v27, v22
	global_load_b64 v[22:23], v[26:27], off glc
	s_waitcnt vmcnt(0)
	global_atomic_cmpswap_b64 v[26:27], v3, v[22:25], s[2:3] offset:24 glc
	s_waitcnt vmcnt(0)
	buffer_gl1_inv
	buffer_gl0_inv
	v_cmp_eq_u64_e32 vcc_lo, v[26:27], v[24:25]
	s_or_b32 s11, vcc_lo, s11
	s_delay_alu instid0(SALU_CYCLE_1)
	s_and_not1_b32 exec_lo, exec_lo, s11
	s_cbranch_execnz .LBB6_1328
; %bb.1329:                             ;   in Loop: Header=BB6_1270 Depth=1
	s_or_b32 exec_lo, exec_lo, s11
.LBB6_1330:                             ;   in Loop: Header=BB6_1270 Depth=1
	s_delay_alu instid0(SALU_CYCLE_1)
	s_or_b32 exec_lo, exec_lo, s10
.LBB6_1331:                             ;   in Loop: Header=BB6_1270 Depth=1
	s_delay_alu instid0(SALU_CYCLE_1)
	s_or_b32 exec_lo, exec_lo, s1
	s_clause 0x1
	global_load_b64 v[30:31], v3, s[2:3] offset:40
	global_load_b128 v[22:25], v3, s[2:3]
	v_readfirstlane_b32 s10, v26
	v_readfirstlane_b32 s11, v27
	s_mov_b32 s1, exec_lo
	s_waitcnt vmcnt(1)
	v_readfirstlane_b32 s12, v30
	v_readfirstlane_b32 s13, v31
	s_delay_alu instid0(VALU_DEP_1) | instskip(NEXT) | instid1(SALU_CYCLE_1)
	s_and_b64 s[12:13], s[10:11], s[12:13]
	s_mul_i32 s14, s13, 24
	s_mul_hi_u32 s15, s12, 24
	s_mul_i32 s16, s12, 24
	s_add_i32 s15, s15, s14
	s_waitcnt vmcnt(0)
	v_add_co_u32 v26, vcc_lo, v22, s16
	v_add_co_ci_u32_e32 v27, vcc_lo, s15, v23, vcc_lo
	s_and_saveexec_b32 s14, s0
	s_cbranch_execz .LBB6_1333
; %bb.1332:                             ;   in Loop: Header=BB6_1270 Depth=1
	v_mov_b32_e32 v2, s1
	global_store_b128 v[26:27], v[2:5], off offset:8
.LBB6_1333:                             ;   in Loop: Header=BB6_1270 Depth=1
	s_or_b32 exec_lo, exec_lo, s14
	s_lshl_b64 s[12:13], s[12:13], 12
	v_or_b32_e32 v2, 2, v6
	v_add_co_u32 v24, vcc_lo, v24, s12
	v_add_co_ci_u32_e32 v25, vcc_lo, s13, v25, vcc_lo
	v_cmp_gt_u64_e64 vcc_lo, s[6:7], 56
	s_lshl_b32 s1, s8, 2
	s_delay_alu instid0(VALU_DEP_3) | instskip(SKIP_4) | instid1(VALU_DEP_1)
	v_readfirstlane_b32 s12, v24
	s_add_i32 s1, s1, 28
	v_readfirstlane_b32 s13, v25
	s_and_b32 s1, s1, 0x1e0
	v_cndmask_b32_e32 v2, v2, v6, vcc_lo
	v_and_or_b32 v6, 0xffffff1f, v2, s1
	s_clause 0x3
	global_store_b128 v28, v[6:9], s[12:13]
	global_store_b128 v28, v[10:13], s[12:13] offset:16
	global_store_b128 v28, v[14:17], s[12:13] offset:32
	;; [unrolled: 1-line block ×3, first 2 shown]
	s_and_saveexec_b32 s1, s0
	s_cbranch_execz .LBB6_1341
; %bb.1334:                             ;   in Loop: Header=BB6_1270 Depth=1
	s_clause 0x1
	global_load_b64 v[14:15], v3, s[2:3] offset:32 glc
	global_load_b64 v[6:7], v3, s[2:3] offset:40
	v_dual_mov_b32 v12, s10 :: v_dual_mov_b32 v13, s11
	s_waitcnt vmcnt(0)
	v_readfirstlane_b32 s12, v6
	v_readfirstlane_b32 s13, v7
	s_delay_alu instid0(VALU_DEP_1) | instskip(NEXT) | instid1(SALU_CYCLE_1)
	s_and_b64 s[12:13], s[12:13], s[10:11]
	s_mul_i32 s13, s13, 24
	s_mul_hi_u32 s14, s12, 24
	s_mul_i32 s12, s12, 24
	s_add_i32 s14, s14, s13
	v_add_co_u32 v10, vcc_lo, v22, s12
	v_add_co_ci_u32_e32 v11, vcc_lo, s14, v23, vcc_lo
	s_mov_b32 s12, exec_lo
	global_store_b64 v[10:11], v[14:15], off
	s_waitcnt_vscnt null, 0x0
	global_atomic_cmpswap_b64 v[8:9], v3, v[12:15], s[2:3] offset:32 glc
	s_waitcnt vmcnt(0)
	v_cmpx_ne_u64_e64 v[8:9], v[14:15]
	s_cbranch_execz .LBB6_1337
; %bb.1335:                             ;   in Loop: Header=BB6_1270 Depth=1
	s_mov_b32 s13, 0
.LBB6_1336:                             ;   Parent Loop BB6_1270 Depth=1
                                        ; =>  This Inner Loop Header: Depth=2
	v_dual_mov_b32 v6, s10 :: v_dual_mov_b32 v7, s11
	s_sleep 1
	global_store_b64 v[10:11], v[8:9], off
	s_waitcnt_vscnt null, 0x0
	global_atomic_cmpswap_b64 v[6:7], v3, v[6:9], s[2:3] offset:32 glc
	s_waitcnt vmcnt(0)
	v_cmp_eq_u64_e32 vcc_lo, v[6:7], v[8:9]
	v_dual_mov_b32 v9, v7 :: v_dual_mov_b32 v8, v6
	s_or_b32 s13, vcc_lo, s13
	s_delay_alu instid0(SALU_CYCLE_1)
	s_and_not1_b32 exec_lo, exec_lo, s13
	s_cbranch_execnz .LBB6_1336
.LBB6_1337:                             ;   in Loop: Header=BB6_1270 Depth=1
	s_or_b32 exec_lo, exec_lo, s12
	global_load_b64 v[6:7], v3, s[2:3] offset:16
	s_mov_b32 s13, exec_lo
	s_mov_b32 s12, exec_lo
	v_mbcnt_lo_u32_b32 v2, s13, 0
	s_delay_alu instid0(VALU_DEP_1)
	v_cmpx_eq_u32_e32 0, v2
	s_cbranch_execz .LBB6_1339
; %bb.1338:                             ;   in Loop: Header=BB6_1270 Depth=1
	s_bcnt1_i32_b32 s13, s13
	s_delay_alu instid0(SALU_CYCLE_1)
	v_mov_b32_e32 v2, s13
	s_waitcnt vmcnt(0)
	global_atomic_add_u64 v[6:7], v[2:3], off offset:8
.LBB6_1339:                             ;   in Loop: Header=BB6_1270 Depth=1
	s_or_b32 exec_lo, exec_lo, s12
	s_waitcnt vmcnt(0)
	global_load_b64 v[8:9], v[6:7], off offset:16
	s_waitcnt vmcnt(0)
	v_cmp_eq_u64_e32 vcc_lo, 0, v[8:9]
	s_cbranch_vccnz .LBB6_1341
; %bb.1340:                             ;   in Loop: Header=BB6_1270 Depth=1
	global_load_b32 v2, v[6:7], off offset:24
	s_waitcnt vmcnt(0)
	v_and_b32_e32 v6, 0xffffff, v2
	s_waitcnt_vscnt null, 0x0
	global_store_b64 v[8:9], v[2:3], off
	v_readfirstlane_b32 m0, v6
	s_sendmsg sendmsg(MSG_INTERRUPT)
.LBB6_1341:                             ;   in Loop: Header=BB6_1270 Depth=1
	s_or_b32 exec_lo, exec_lo, s1
	v_add_co_u32 v6, vcc_lo, v24, v28
	v_add_co_ci_u32_e32 v7, vcc_lo, 0, v25, vcc_lo
	s_branch .LBB6_1343
.LBB6_1342:                             ;   in Loop: Header=BB6_1270 Depth=1
	s_branch .LBB6_1347
.LBB6_1343:                             ;   Parent Loop BB6_1270 Depth=1
                                        ; =>  This Inner Loop Header: Depth=2
	v_mov_b32_e32 v2, 1
	s_and_saveexec_b32 s1, s0
	s_cbranch_execz .LBB6_1345
; %bb.1344:                             ;   in Loop: Header=BB6_1343 Depth=2
	global_load_b32 v2, v[26:27], off offset:20 glc
	s_waitcnt vmcnt(0)
	buffer_gl1_inv
	buffer_gl0_inv
	v_and_b32_e32 v2, 1, v2
.LBB6_1345:                             ;   in Loop: Header=BB6_1343 Depth=2
	s_or_b32 exec_lo, exec_lo, s1
	s_delay_alu instid0(VALU_DEP_1) | instskip(NEXT) | instid1(VALU_DEP_1)
	v_readfirstlane_b32 s1, v2
	s_cmp_eq_u32 s1, 0
	s_cbranch_scc1 .LBB6_1342
; %bb.1346:                             ;   in Loop: Header=BB6_1343 Depth=2
	s_sleep 1
	s_cbranch_execnz .LBB6_1343
.LBB6_1347:                             ;   in Loop: Header=BB6_1270 Depth=1
	global_load_b128 v[6:9], v[6:7], off
	s_and_saveexec_b32 s1, s0
	s_cbranch_execz .LBB6_1269
; %bb.1348:                             ;   in Loop: Header=BB6_1270 Depth=1
	s_clause 0x2
	global_load_b64 v[10:11], v3, s[2:3] offset:40
	global_load_b64 v[14:15], v3, s[2:3] offset:24 glc
	global_load_b64 v[12:13], v3, s[2:3]
	s_waitcnt vmcnt(2)
	v_add_co_u32 v2, vcc_lo, v10, 1
	v_add_co_ci_u32_e32 v16, vcc_lo, 0, v11, vcc_lo
	s_delay_alu instid0(VALU_DEP_2) | instskip(NEXT) | instid1(VALU_DEP_2)
	v_add_co_u32 v8, vcc_lo, v2, s10
	v_add_co_ci_u32_e32 v9, vcc_lo, s11, v16, vcc_lo
	s_delay_alu instid0(VALU_DEP_1) | instskip(SKIP_1) | instid1(VALU_DEP_1)
	v_cmp_eq_u64_e32 vcc_lo, 0, v[8:9]
	v_dual_cndmask_b32 v9, v9, v16 :: v_dual_cndmask_b32 v8, v8, v2
	v_and_b32_e32 v2, v9, v11
	s_delay_alu instid0(VALU_DEP_2) | instskip(NEXT) | instid1(VALU_DEP_2)
	v_and_b32_e32 v10, v8, v10
	v_mul_lo_u32 v2, v2, 24
	s_delay_alu instid0(VALU_DEP_2) | instskip(SKIP_1) | instid1(VALU_DEP_2)
	v_mul_hi_u32 v11, v10, 24
	v_mul_lo_u32 v10, v10, 24
	v_add_nc_u32_e32 v2, v11, v2
	s_waitcnt vmcnt(1)
	v_mov_b32_e32 v11, v15
	s_waitcnt vmcnt(0)
	s_delay_alu instid0(VALU_DEP_3)
	v_add_co_u32 v12, vcc_lo, v12, v10
	v_mov_b32_e32 v10, v14
	v_add_co_ci_u32_e32 v13, vcc_lo, v13, v2, vcc_lo
	global_store_b64 v[12:13], v[14:15], off
	s_waitcnt_vscnt null, 0x0
	global_atomic_cmpswap_b64 v[10:11], v3, v[8:11], s[2:3] offset:24 glc
	s_waitcnt vmcnt(0)
	v_cmp_ne_u64_e32 vcc_lo, v[10:11], v[14:15]
	s_and_b32 exec_lo, exec_lo, vcc_lo
	s_cbranch_execz .LBB6_1269
; %bb.1349:                             ;   in Loop: Header=BB6_1270 Depth=1
	s_mov_b32 s0, 0
.LBB6_1350:                             ;   Parent Loop BB6_1270 Depth=1
                                        ; =>  This Inner Loop Header: Depth=2
	s_sleep 1
	global_store_b64 v[12:13], v[10:11], off
	s_waitcnt_vscnt null, 0x0
	global_atomic_cmpswap_b64 v[14:15], v3, v[8:11], s[2:3] offset:24 glc
	s_waitcnt vmcnt(0)
	v_cmp_eq_u64_e32 vcc_lo, v[14:15], v[10:11]
	v_dual_mov_b32 v10, v14 :: v_dual_mov_b32 v11, v15
	s_or_b32 s0, vcc_lo, s0
	s_delay_alu instid0(SALU_CYCLE_1)
	s_and_not1_b32 exec_lo, exec_lo, s0
	s_cbranch_execnz .LBB6_1350
	s_branch .LBB6_1269
.LBB6_1351:
	s_mov_b32 s1, 0
	s_branch .LBB6_1353
.LBB6_1352:
	s_mov_b32 s1, -1
                                        ; implicit-def: $vgpr6_vgpr7
.LBB6_1353:
	s_delay_alu instid0(SALU_CYCLE_1)
	s_and_b32 vcc_lo, exec_lo, s1
	s_cbranch_vccz .LBB6_1381
; %bb.1354:
	v_readfirstlane_b32 s1, v36
	v_mov_b32_e32 v1, 0
	v_mov_b32_e32 v2, 0
	s_delay_alu instid0(VALU_DEP_3) | instskip(NEXT) | instid1(VALU_DEP_1)
	v_cmp_eq_u32_e64 s1, s1, v36
	s_and_saveexec_b32 s2, s1
	s_cbranch_execz .LBB6_1360
; %bb.1355:
	s_waitcnt vmcnt(0)
	v_mov_b32_e32 v6, 0
	s_mov_b32 s3, exec_lo
	global_load_b64 v[9:10], v6, s[4:5] offset:24 glc
	s_waitcnt vmcnt(0)
	buffer_gl1_inv
	buffer_gl0_inv
	s_clause 0x1
	global_load_b64 v[1:2], v6, s[4:5] offset:40
	global_load_b64 v[7:8], v6, s[4:5]
	s_waitcnt vmcnt(1)
	v_and_b32_e32 v1, v1, v9
	v_and_b32_e32 v2, v2, v10
	s_delay_alu instid0(VALU_DEP_2) | instskip(NEXT) | instid1(VALU_DEP_2)
	v_mul_hi_u32 v11, v1, 24
	v_mul_lo_u32 v2, v2, 24
	v_mul_lo_u32 v1, v1, 24
	s_delay_alu instid0(VALU_DEP_2) | instskip(SKIP_1) | instid1(VALU_DEP_2)
	v_add_nc_u32_e32 v2, v11, v2
	s_waitcnt vmcnt(0)
	v_add_co_u32 v1, vcc_lo, v7, v1
	s_delay_alu instid0(VALU_DEP_2)
	v_add_co_ci_u32_e32 v2, vcc_lo, v8, v2, vcc_lo
	global_load_b64 v[7:8], v[1:2], off glc
	s_waitcnt vmcnt(0)
	global_atomic_cmpswap_b64 v[1:2], v6, v[7:10], s[4:5] offset:24 glc
	s_waitcnt vmcnt(0)
	buffer_gl1_inv
	buffer_gl0_inv
	v_cmpx_ne_u64_e64 v[1:2], v[9:10]
	s_cbranch_execz .LBB6_1359
; %bb.1356:
	s_mov_b32 s6, 0
.LBB6_1357:                             ; =>This Inner Loop Header: Depth=1
	s_sleep 1
	s_clause 0x1
	global_load_b64 v[7:8], v6, s[4:5] offset:40
	global_load_b64 v[11:12], v6, s[4:5]
	v_dual_mov_b32 v10, v2 :: v_dual_mov_b32 v9, v1
	s_waitcnt vmcnt(1)
	s_delay_alu instid0(VALU_DEP_1) | instskip(SKIP_1) | instid1(VALU_DEP_1)
	v_and_b32_e32 v7, v7, v9
	s_waitcnt vmcnt(0)
	v_mad_u64_u32 v[1:2], null, v7, 24, v[11:12]
	v_and_b32_e32 v11, v8, v10
	s_delay_alu instid0(VALU_DEP_1) | instskip(NEXT) | instid1(VALU_DEP_1)
	v_mad_u64_u32 v[7:8], null, v11, 24, v[2:3]
	v_mov_b32_e32 v2, v7
	global_load_b64 v[7:8], v[1:2], off glc
	s_waitcnt vmcnt(0)
	global_atomic_cmpswap_b64 v[1:2], v6, v[7:10], s[4:5] offset:24 glc
	s_waitcnt vmcnt(0)
	buffer_gl1_inv
	buffer_gl0_inv
	v_cmp_eq_u64_e32 vcc_lo, v[1:2], v[9:10]
	s_or_b32 s6, vcc_lo, s6
	s_delay_alu instid0(SALU_CYCLE_1)
	s_and_not1_b32 exec_lo, exec_lo, s6
	s_cbranch_execnz .LBB6_1357
; %bb.1358:
	s_or_b32 exec_lo, exec_lo, s6
.LBB6_1359:
	s_delay_alu instid0(SALU_CYCLE_1)
	s_or_b32 exec_lo, exec_lo, s3
.LBB6_1360:
	s_delay_alu instid0(SALU_CYCLE_1)
	s_or_b32 exec_lo, exec_lo, s2
	s_waitcnt vmcnt(0)
	v_mov_b32_e32 v6, 0
	v_readfirstlane_b32 s2, v1
	v_readfirstlane_b32 s3, v2
	s_mov_b32 s8, exec_lo
	s_clause 0x1
	global_load_b64 v[12:13], v6, s[4:5] offset:40
	global_load_b128 v[8:11], v6, s[4:5]
	s_waitcnt vmcnt(1)
	v_readfirstlane_b32 s6, v12
	v_readfirstlane_b32 s7, v13
	s_delay_alu instid0(VALU_DEP_1) | instskip(NEXT) | instid1(SALU_CYCLE_1)
	s_and_b64 s[6:7], s[2:3], s[6:7]
	s_mul_i32 s9, s7, 24
	s_mul_hi_u32 s10, s6, 24
	s_mul_i32 s11, s6, 24
	s_add_i32 s10, s10, s9
	s_waitcnt vmcnt(0)
	v_add_co_u32 v1, vcc_lo, v8, s11
	v_add_co_ci_u32_e32 v2, vcc_lo, s10, v9, vcc_lo
	s_and_saveexec_b32 s9, s1
	s_cbranch_execz .LBB6_1362
; %bb.1361:
	v_dual_mov_b32 v12, s8 :: v_dual_mov_b32 v13, v6
	v_dual_mov_b32 v14, 2 :: v_dual_mov_b32 v15, 1
	global_store_b128 v[1:2], v[12:15], off offset:8
.LBB6_1362:
	s_or_b32 exec_lo, exec_lo, s9
	s_lshl_b64 s[6:7], s[6:7], 12
	s_mov_b32 s8, 0
	v_add_co_u32 v10, vcc_lo, v10, s6
	v_add_co_ci_u32_e32 v11, vcc_lo, s7, v11, vcc_lo
	s_mov_b32 s11, s8
	s_delay_alu instid0(VALU_DEP_2)
	v_readfirstlane_b32 s6, v10
	v_add_co_u32 v10, vcc_lo, v10, v35
	s_mov_b32 s9, s8
	s_mov_b32 s10, s8
	v_and_or_b32 v4, 0xffffff1f, v4, 32
	v_mov_b32_e32 v7, v6
	v_readfirstlane_b32 s7, v11
	v_dual_mov_b32 v15, s11 :: v_dual_mov_b32 v12, s8
	v_add_co_ci_u32_e32 v11, vcc_lo, 0, v11, vcc_lo
	v_dual_mov_b32 v14, s10 :: v_dual_mov_b32 v13, s9
	s_clause 0x3
	global_store_b128 v35, v[4:7], s[6:7]
	global_store_b128 v35, v[12:15], s[6:7] offset:16
	global_store_b128 v35, v[12:15], s[6:7] offset:32
	;; [unrolled: 1-line block ×3, first 2 shown]
	s_and_saveexec_b32 s6, s1
	s_cbranch_execz .LBB6_1370
; %bb.1363:
	v_dual_mov_b32 v12, 0 :: v_dual_mov_b32 v13, s2
	v_mov_b32_e32 v14, s3
	s_clause 0x1
	global_load_b64 v[15:16], v12, s[4:5] offset:32 glc
	global_load_b64 v[4:5], v12, s[4:5] offset:40
	s_waitcnt vmcnt(0)
	v_readfirstlane_b32 s8, v4
	v_readfirstlane_b32 s9, v5
	s_delay_alu instid0(VALU_DEP_1) | instskip(NEXT) | instid1(SALU_CYCLE_1)
	s_and_b64 s[8:9], s[8:9], s[2:3]
	s_mul_i32 s7, s9, 24
	s_mul_hi_u32 s9, s8, 24
	s_mul_i32 s8, s8, 24
	s_add_i32 s9, s9, s7
	v_add_co_u32 v8, vcc_lo, v8, s8
	v_add_co_ci_u32_e32 v9, vcc_lo, s9, v9, vcc_lo
	s_mov_b32 s7, exec_lo
	global_store_b64 v[8:9], v[15:16], off
	s_waitcnt_vscnt null, 0x0
	global_atomic_cmpswap_b64 v[6:7], v12, v[13:16], s[4:5] offset:32 glc
	s_waitcnt vmcnt(0)
	v_cmpx_ne_u64_e64 v[6:7], v[15:16]
	s_cbranch_execz .LBB6_1366
; %bb.1364:
	s_mov_b32 s8, 0
.LBB6_1365:                             ; =>This Inner Loop Header: Depth=1
	v_dual_mov_b32 v4, s2 :: v_dual_mov_b32 v5, s3
	s_sleep 1
	global_store_b64 v[8:9], v[6:7], off
	s_waitcnt_vscnt null, 0x0
	global_atomic_cmpswap_b64 v[4:5], v12, v[4:7], s[4:5] offset:32 glc
	s_waitcnt vmcnt(0)
	v_cmp_eq_u64_e32 vcc_lo, v[4:5], v[6:7]
	v_dual_mov_b32 v7, v5 :: v_dual_mov_b32 v6, v4
	s_or_b32 s8, vcc_lo, s8
	s_delay_alu instid0(SALU_CYCLE_1)
	s_and_not1_b32 exec_lo, exec_lo, s8
	s_cbranch_execnz .LBB6_1365
.LBB6_1366:
	s_or_b32 exec_lo, exec_lo, s7
	v_mov_b32_e32 v7, 0
	s_mov_b32 s8, exec_lo
	s_mov_b32 s7, exec_lo
	v_mbcnt_lo_u32_b32 v6, s8, 0
	global_load_b64 v[4:5], v7, s[4:5] offset:16
	v_cmpx_eq_u32_e32 0, v6
	s_cbranch_execz .LBB6_1368
; %bb.1367:
	s_bcnt1_i32_b32 s8, s8
	s_delay_alu instid0(SALU_CYCLE_1)
	v_mov_b32_e32 v6, s8
	s_waitcnt vmcnt(0)
	global_atomic_add_u64 v[4:5], v[6:7], off offset:8
.LBB6_1368:
	s_or_b32 exec_lo, exec_lo, s7
	s_waitcnt vmcnt(0)
	global_load_b64 v[6:7], v[4:5], off offset:16
	s_waitcnt vmcnt(0)
	v_cmp_eq_u64_e32 vcc_lo, 0, v[6:7]
	s_cbranch_vccnz .LBB6_1370
; %bb.1369:
	global_load_b32 v4, v[4:5], off offset:24
	s_waitcnt vmcnt(0)
	v_dual_mov_b32 v5, 0 :: v_dual_and_b32 v8, 0xffffff, v4
	s_waitcnt_vscnt null, 0x0
	global_store_b64 v[6:7], v[4:5], off
	v_readfirstlane_b32 m0, v8
	s_sendmsg sendmsg(MSG_INTERRUPT)
.LBB6_1370:
	s_or_b32 exec_lo, exec_lo, s6
	s_branch .LBB6_1372
.LBB6_1371:
	s_branch .LBB6_1376
.LBB6_1372:                             ; =>This Inner Loop Header: Depth=1
	v_mov_b32_e32 v4, 1
	s_and_saveexec_b32 s6, s1
	s_cbranch_execz .LBB6_1374
; %bb.1373:                             ;   in Loop: Header=BB6_1372 Depth=1
	global_load_b32 v4, v[1:2], off offset:20 glc
	s_waitcnt vmcnt(0)
	buffer_gl1_inv
	buffer_gl0_inv
	v_and_b32_e32 v4, 1, v4
.LBB6_1374:                             ;   in Loop: Header=BB6_1372 Depth=1
	s_or_b32 exec_lo, exec_lo, s6
	s_delay_alu instid0(VALU_DEP_1) | instskip(NEXT) | instid1(VALU_DEP_1)
	v_readfirstlane_b32 s6, v4
	s_cmp_eq_u32 s6, 0
	s_cbranch_scc1 .LBB6_1371
; %bb.1375:                             ;   in Loop: Header=BB6_1372 Depth=1
	s_sleep 1
	s_cbranch_execnz .LBB6_1372
.LBB6_1376:
	global_load_b64 v[6:7], v[10:11], off
	s_and_saveexec_b32 s6, s1
	s_cbranch_execz .LBB6_1380
; %bb.1377:
	v_mov_b32_e32 v4, 0
	s_clause 0x2
	global_load_b64 v[1:2], v4, s[4:5] offset:40
	global_load_b64 v[12:13], v4, s[4:5] offset:24 glc
	global_load_b64 v[10:11], v4, s[4:5]
	s_waitcnt vmcnt(2)
	v_add_co_u32 v5, vcc_lo, v1, 1
	v_add_co_ci_u32_e32 v14, vcc_lo, 0, v2, vcc_lo
	s_delay_alu instid0(VALU_DEP_2) | instskip(NEXT) | instid1(VALU_DEP_2)
	v_add_co_u32 v8, vcc_lo, v5, s2
	v_add_co_ci_u32_e32 v9, vcc_lo, s3, v14, vcc_lo
	s_delay_alu instid0(VALU_DEP_1) | instskip(SKIP_1) | instid1(VALU_DEP_1)
	v_cmp_eq_u64_e32 vcc_lo, 0, v[8:9]
	v_dual_cndmask_b32 v9, v9, v14 :: v_dual_cndmask_b32 v8, v8, v5
	v_and_b32_e32 v2, v9, v2
	s_delay_alu instid0(VALU_DEP_2) | instskip(NEXT) | instid1(VALU_DEP_2)
	v_and_b32_e32 v1, v8, v1
	v_mul_lo_u32 v2, v2, 24
	s_delay_alu instid0(VALU_DEP_2) | instskip(SKIP_1) | instid1(VALU_DEP_2)
	v_mul_hi_u32 v5, v1, 24
	v_mul_lo_u32 v1, v1, 24
	v_add_nc_u32_e32 v2, v5, v2
	s_waitcnt vmcnt(0)
	s_delay_alu instid0(VALU_DEP_2) | instskip(SKIP_1) | instid1(VALU_DEP_3)
	v_add_co_u32 v1, vcc_lo, v10, v1
	v_mov_b32_e32 v10, v12
	v_add_co_ci_u32_e32 v2, vcc_lo, v11, v2, vcc_lo
	v_mov_b32_e32 v11, v13
	global_store_b64 v[1:2], v[12:13], off
	s_waitcnt_vscnt null, 0x0
	global_atomic_cmpswap_b64 v[10:11], v4, v[8:11], s[4:5] offset:24 glc
	s_waitcnt vmcnt(0)
	v_cmp_ne_u64_e32 vcc_lo, v[10:11], v[12:13]
	s_and_b32 exec_lo, exec_lo, vcc_lo
	s_cbranch_execz .LBB6_1380
; %bb.1378:
	s_mov_b32 s1, 0
.LBB6_1379:                             ; =>This Inner Loop Header: Depth=1
	s_sleep 1
	global_store_b64 v[1:2], v[10:11], off
	s_waitcnt_vscnt null, 0x0
	global_atomic_cmpswap_b64 v[12:13], v4, v[8:11], s[4:5] offset:24 glc
	s_waitcnt vmcnt(0)
	v_cmp_eq_u64_e32 vcc_lo, v[12:13], v[10:11]
	v_dual_mov_b32 v10, v12 :: v_dual_mov_b32 v11, v13
	s_or_b32 s1, vcc_lo, s1
	s_delay_alu instid0(SALU_CYCLE_1)
	s_and_not1_b32 exec_lo, exec_lo, s1
	s_cbranch_execnz .LBB6_1379
.LBB6_1380:
	s_or_b32 exec_lo, exec_lo, s6
.LBB6_1381:
	v_readfirstlane_b32 s1, v36
	v_mov_b32_e32 v1, 0
	v_mov_b32_e32 v2, 0
	s_delay_alu instid0(VALU_DEP_3) | instskip(NEXT) | instid1(VALU_DEP_1)
	v_cmp_eq_u32_e64 s1, s1, v36
	s_and_saveexec_b32 s2, s1
	s_cbranch_execz .LBB6_1387
; %bb.1382:
	s_waitcnt vmcnt(0)
	v_mov_b32_e32 v4, 0
	s_mov_b32 s3, exec_lo
	global_load_b64 v[10:11], v4, s[4:5] offset:24 glc
	s_waitcnt vmcnt(0)
	buffer_gl1_inv
	buffer_gl0_inv
	s_clause 0x1
	global_load_b64 v[1:2], v4, s[4:5] offset:40
	global_load_b64 v[8:9], v4, s[4:5]
	s_waitcnt vmcnt(1)
	v_and_b32_e32 v1, v1, v10
	v_and_b32_e32 v2, v2, v11
	s_delay_alu instid0(VALU_DEP_2) | instskip(NEXT) | instid1(VALU_DEP_2)
	v_mul_hi_u32 v5, v1, 24
	v_mul_lo_u32 v2, v2, 24
	v_mul_lo_u32 v1, v1, 24
	s_delay_alu instid0(VALU_DEP_2) | instskip(SKIP_1) | instid1(VALU_DEP_2)
	v_add_nc_u32_e32 v2, v5, v2
	s_waitcnt vmcnt(0)
	v_add_co_u32 v1, vcc_lo, v8, v1
	s_delay_alu instid0(VALU_DEP_2)
	v_add_co_ci_u32_e32 v2, vcc_lo, v9, v2, vcc_lo
	global_load_b64 v[8:9], v[1:2], off glc
	s_waitcnt vmcnt(0)
	global_atomic_cmpswap_b64 v[1:2], v4, v[8:11], s[4:5] offset:24 glc
	s_waitcnt vmcnt(0)
	buffer_gl1_inv
	buffer_gl0_inv
	v_cmpx_ne_u64_e64 v[1:2], v[10:11]
	s_cbranch_execz .LBB6_1386
; %bb.1383:
	s_mov_b32 s6, 0
.LBB6_1384:                             ; =>This Inner Loop Header: Depth=1
	s_sleep 1
	s_clause 0x1
	global_load_b64 v[8:9], v4, s[4:5] offset:40
	global_load_b64 v[12:13], v4, s[4:5]
	v_dual_mov_b32 v11, v2 :: v_dual_mov_b32 v10, v1
	s_waitcnt vmcnt(1)
	s_delay_alu instid0(VALU_DEP_1) | instskip(SKIP_1) | instid1(VALU_DEP_1)
	v_and_b32_e32 v5, v8, v10
	s_waitcnt vmcnt(0)
	v_mad_u64_u32 v[1:2], null, v5, 24, v[12:13]
	v_and_b32_e32 v5, v9, v11
	s_delay_alu instid0(VALU_DEP_1) | instskip(NEXT) | instid1(VALU_DEP_1)
	v_mad_u64_u32 v[8:9], null, v5, 24, v[2:3]
	v_mov_b32_e32 v2, v8
	global_load_b64 v[8:9], v[1:2], off glc
	s_waitcnt vmcnt(0)
	global_atomic_cmpswap_b64 v[1:2], v4, v[8:11], s[4:5] offset:24 glc
	s_waitcnt vmcnt(0)
	buffer_gl1_inv
	buffer_gl0_inv
	v_cmp_eq_u64_e32 vcc_lo, v[1:2], v[10:11]
	s_or_b32 s6, vcc_lo, s6
	s_delay_alu instid0(SALU_CYCLE_1)
	s_and_not1_b32 exec_lo, exec_lo, s6
	s_cbranch_execnz .LBB6_1384
; %bb.1385:
	s_or_b32 exec_lo, exec_lo, s6
.LBB6_1386:
	s_delay_alu instid0(SALU_CYCLE_1)
	s_or_b32 exec_lo, exec_lo, s3
.LBB6_1387:
	s_delay_alu instid0(SALU_CYCLE_1)
	s_or_b32 exec_lo, exec_lo, s2
	s_waitcnt vmcnt(0)
	v_mov_b32_e32 v9, 0
	v_readfirstlane_b32 s2, v1
	v_readfirstlane_b32 s3, v2
	s_mov_b32 s8, exec_lo
	s_clause 0x1
	global_load_b64 v[4:5], v9, s[4:5] offset:40
	global_load_b128 v[10:13], v9, s[4:5]
	s_waitcnt vmcnt(1)
	v_readfirstlane_b32 s6, v4
	v_readfirstlane_b32 s7, v5
	s_delay_alu instid0(VALU_DEP_1) | instskip(NEXT) | instid1(SALU_CYCLE_1)
	s_and_b64 s[6:7], s[2:3], s[6:7]
	s_mul_i32 s9, s7, 24
	s_mul_hi_u32 s10, s6, 24
	s_mul_i32 s11, s6, 24
	s_add_i32 s10, s10, s9
	s_waitcnt vmcnt(0)
	v_add_co_u32 v1, vcc_lo, v10, s11
	v_add_co_ci_u32_e32 v2, vcc_lo, s10, v11, vcc_lo
	s_and_saveexec_b32 s9, s1
	s_cbranch_execz .LBB6_1389
; %bb.1388:
	v_dual_mov_b32 v8, s8 :: v_dual_mov_b32 v17, 1
	v_dual_mov_b32 v16, 2 :: v_dual_mov_b32 v15, v9
	s_delay_alu instid0(VALU_DEP_2)
	v_mov_b32_e32 v14, v8
	global_store_b128 v[1:2], v[14:17], off offset:8
.LBB6_1389:
	s_or_b32 exec_lo, exec_lo, s9
	s_lshl_b64 s[6:7], s[6:7], 12
	s_mov_b32 s8, 0
	v_add_co_u32 v4, vcc_lo, v12, s6
	v_add_co_ci_u32_e32 v5, vcc_lo, s7, v13, vcc_lo
	s_mov_b32 s11, s8
	s_delay_alu instid0(VALU_DEP_2)
	v_add_co_u32 v12, vcc_lo, v4, v35
	s_mov_b32 s9, s8
	s_mov_b32 s10, s8
	v_and_or_b32 v6, 0xffffff1f, v6, 32
	v_dual_mov_b32 v8, v37 :: v_dual_mov_b32 v17, s11
	v_readfirstlane_b32 s6, v4
	v_readfirstlane_b32 s7, v5
	v_add_co_ci_u32_e32 v13, vcc_lo, 0, v5, vcc_lo
	v_dual_mov_b32 v16, s10 :: v_dual_mov_b32 v15, s9
	v_mov_b32_e32 v14, s8
	s_clause 0x3
	global_store_b128 v35, v[6:9], s[6:7]
	global_store_b128 v35, v[14:17], s[6:7] offset:16
	global_store_b128 v35, v[14:17], s[6:7] offset:32
	;; [unrolled: 1-line block ×3, first 2 shown]
	s_and_saveexec_b32 s6, s1
	s_cbranch_execz .LBB6_1397
; %bb.1390:
	v_dual_mov_b32 v14, 0 :: v_dual_mov_b32 v15, s2
	v_mov_b32_e32 v16, s3
	s_clause 0x1
	global_load_b64 v[17:18], v14, s[4:5] offset:32 glc
	global_load_b64 v[4:5], v14, s[4:5] offset:40
	s_waitcnt vmcnt(0)
	v_readfirstlane_b32 s8, v4
	v_readfirstlane_b32 s9, v5
	s_delay_alu instid0(VALU_DEP_1) | instskip(NEXT) | instid1(SALU_CYCLE_1)
	s_and_b64 s[8:9], s[8:9], s[2:3]
	s_mul_i32 s7, s9, 24
	s_mul_hi_u32 s9, s8, 24
	s_mul_i32 s8, s8, 24
	s_add_i32 s9, s9, s7
	v_add_co_u32 v8, vcc_lo, v10, s8
	v_add_co_ci_u32_e32 v9, vcc_lo, s9, v11, vcc_lo
	s_mov_b32 s7, exec_lo
	global_store_b64 v[8:9], v[17:18], off
	s_waitcnt_vscnt null, 0x0
	global_atomic_cmpswap_b64 v[6:7], v14, v[15:18], s[4:5] offset:32 glc
	s_waitcnt vmcnt(0)
	v_cmpx_ne_u64_e64 v[6:7], v[17:18]
	s_cbranch_execz .LBB6_1393
; %bb.1391:
	s_mov_b32 s8, 0
.LBB6_1392:                             ; =>This Inner Loop Header: Depth=1
	v_dual_mov_b32 v4, s2 :: v_dual_mov_b32 v5, s3
	s_sleep 1
	global_store_b64 v[8:9], v[6:7], off
	s_waitcnt_vscnt null, 0x0
	global_atomic_cmpswap_b64 v[4:5], v14, v[4:7], s[4:5] offset:32 glc
	s_waitcnt vmcnt(0)
	v_cmp_eq_u64_e32 vcc_lo, v[4:5], v[6:7]
	v_dual_mov_b32 v7, v5 :: v_dual_mov_b32 v6, v4
	s_or_b32 s8, vcc_lo, s8
	s_delay_alu instid0(SALU_CYCLE_1)
	s_and_not1_b32 exec_lo, exec_lo, s8
	s_cbranch_execnz .LBB6_1392
.LBB6_1393:
	s_or_b32 exec_lo, exec_lo, s7
	v_mov_b32_e32 v7, 0
	s_mov_b32 s8, exec_lo
	s_mov_b32 s7, exec_lo
	v_mbcnt_lo_u32_b32 v6, s8, 0
	global_load_b64 v[4:5], v7, s[4:5] offset:16
	v_cmpx_eq_u32_e32 0, v6
	s_cbranch_execz .LBB6_1395
; %bb.1394:
	s_bcnt1_i32_b32 s8, s8
	s_delay_alu instid0(SALU_CYCLE_1)
	v_mov_b32_e32 v6, s8
	s_waitcnt vmcnt(0)
	global_atomic_add_u64 v[4:5], v[6:7], off offset:8
.LBB6_1395:
	s_or_b32 exec_lo, exec_lo, s7
	s_waitcnt vmcnt(0)
	global_load_b64 v[6:7], v[4:5], off offset:16
	s_waitcnt vmcnt(0)
	v_cmp_eq_u64_e32 vcc_lo, 0, v[6:7]
	s_cbranch_vccnz .LBB6_1397
; %bb.1396:
	global_load_b32 v4, v[4:5], off offset:24
	s_waitcnt vmcnt(0)
	v_dual_mov_b32 v5, 0 :: v_dual_and_b32 v8, 0xffffff, v4
	s_waitcnt_vscnt null, 0x0
	global_store_b64 v[6:7], v[4:5], off
	v_readfirstlane_b32 m0, v8
	s_sendmsg sendmsg(MSG_INTERRUPT)
.LBB6_1397:
	s_or_b32 exec_lo, exec_lo, s6
	s_branch .LBB6_1399
.LBB6_1398:
	s_branch .LBB6_1403
.LBB6_1399:                             ; =>This Inner Loop Header: Depth=1
	v_mov_b32_e32 v4, 1
	s_and_saveexec_b32 s6, s1
	s_cbranch_execz .LBB6_1401
; %bb.1400:                             ;   in Loop: Header=BB6_1399 Depth=1
	global_load_b32 v4, v[1:2], off offset:20 glc
	s_waitcnt vmcnt(0)
	buffer_gl1_inv
	buffer_gl0_inv
	v_and_b32_e32 v4, 1, v4
.LBB6_1401:                             ;   in Loop: Header=BB6_1399 Depth=1
	s_or_b32 exec_lo, exec_lo, s6
	s_delay_alu instid0(VALU_DEP_1) | instskip(NEXT) | instid1(VALU_DEP_1)
	v_readfirstlane_b32 s6, v4
	s_cmp_eq_u32 s6, 0
	s_cbranch_scc1 .LBB6_1398
; %bb.1402:                             ;   in Loop: Header=BB6_1399 Depth=1
	s_sleep 1
	s_cbranch_execnz .LBB6_1399
.LBB6_1403:
	global_load_b64 v[1:2], v[12:13], off
	s_and_saveexec_b32 s6, s1
	s_cbranch_execz .LBB6_1407
; %bb.1404:
	v_mov_b32_e32 v10, 0
	s_clause 0x2
	global_load_b64 v[6:7], v10, s[4:5] offset:40
	global_load_b64 v[11:12], v10, s[4:5] offset:24 glc
	global_load_b64 v[8:9], v10, s[4:5]
	s_waitcnt vmcnt(2)
	v_add_co_u32 v13, vcc_lo, v6, 1
	v_add_co_ci_u32_e32 v14, vcc_lo, 0, v7, vcc_lo
	s_delay_alu instid0(VALU_DEP_2) | instskip(NEXT) | instid1(VALU_DEP_2)
	v_add_co_u32 v4, vcc_lo, v13, s2
	v_add_co_ci_u32_e32 v5, vcc_lo, s3, v14, vcc_lo
	s_delay_alu instid0(VALU_DEP_1) | instskip(SKIP_1) | instid1(VALU_DEP_1)
	v_cmp_eq_u64_e32 vcc_lo, 0, v[4:5]
	v_dual_cndmask_b32 v5, v5, v14 :: v_dual_cndmask_b32 v4, v4, v13
	v_and_b32_e32 v7, v5, v7
	s_delay_alu instid0(VALU_DEP_2) | instskip(NEXT) | instid1(VALU_DEP_2)
	v_and_b32_e32 v6, v4, v6
	v_mul_lo_u32 v7, v7, 24
	s_delay_alu instid0(VALU_DEP_2) | instskip(SKIP_1) | instid1(VALU_DEP_2)
	v_mul_hi_u32 v13, v6, 24
	v_mul_lo_u32 v6, v6, 24
	v_add_nc_u32_e32 v7, v13, v7
	s_waitcnt vmcnt(0)
	s_delay_alu instid0(VALU_DEP_2) | instskip(SKIP_1) | instid1(VALU_DEP_3)
	v_add_co_u32 v8, vcc_lo, v8, v6
	v_mov_b32_e32 v6, v11
	v_add_co_ci_u32_e32 v9, vcc_lo, v9, v7, vcc_lo
	v_mov_b32_e32 v7, v12
	global_store_b64 v[8:9], v[11:12], off
	s_waitcnt_vscnt null, 0x0
	global_atomic_cmpswap_b64 v[6:7], v10, v[4:7], s[4:5] offset:24 glc
	s_waitcnt vmcnt(0)
	v_cmp_ne_u64_e32 vcc_lo, v[6:7], v[11:12]
	s_and_b32 exec_lo, exec_lo, vcc_lo
	s_cbranch_execz .LBB6_1407
; %bb.1405:
	s_mov_b32 s1, 0
.LBB6_1406:                             ; =>This Inner Loop Header: Depth=1
	s_sleep 1
	global_store_b64 v[8:9], v[6:7], off
	s_waitcnt_vscnt null, 0x0
	global_atomic_cmpswap_b64 v[11:12], v10, v[4:7], s[4:5] offset:24 glc
	s_waitcnt vmcnt(0)
	v_cmp_eq_u64_e32 vcc_lo, v[11:12], v[6:7]
	v_dual_mov_b32 v6, v11 :: v_dual_mov_b32 v7, v12
	s_or_b32 s1, vcc_lo, s1
	s_delay_alu instid0(SALU_CYCLE_1)
	s_and_not1_b32 exec_lo, exec_lo, s1
	s_cbranch_execnz .LBB6_1406
.LBB6_1407:
	s_or_b32 exec_lo, exec_lo, s6
	v_readfirstlane_b32 s1, v36
	v_mov_b32_e32 v9, 0
	v_mov_b32_e32 v10, 0
	s_delay_alu instid0(VALU_DEP_3) | instskip(NEXT) | instid1(VALU_DEP_1)
	v_cmp_eq_u32_e64 s1, s1, v36
	s_and_saveexec_b32 s2, s1
	s_cbranch_execz .LBB6_1413
; %bb.1408:
	v_mov_b32_e32 v4, 0
	s_mov_b32 s3, exec_lo
	global_load_b64 v[7:8], v4, s[4:5] offset:24 glc
	s_waitcnt vmcnt(0)
	buffer_gl1_inv
	buffer_gl0_inv
	s_clause 0x1
	global_load_b64 v[5:6], v4, s[4:5] offset:40
	global_load_b64 v[9:10], v4, s[4:5]
	s_waitcnt vmcnt(1)
	v_and_b32_e32 v5, v5, v7
	v_and_b32_e32 v6, v6, v8
	s_delay_alu instid0(VALU_DEP_2) | instskip(NEXT) | instid1(VALU_DEP_2)
	v_mul_hi_u32 v11, v5, 24
	v_mul_lo_u32 v6, v6, 24
	v_mul_lo_u32 v5, v5, 24
	s_delay_alu instid0(VALU_DEP_2) | instskip(SKIP_1) | instid1(VALU_DEP_2)
	v_add_nc_u32_e32 v6, v11, v6
	s_waitcnt vmcnt(0)
	v_add_co_u32 v5, vcc_lo, v9, v5
	s_delay_alu instid0(VALU_DEP_2)
	v_add_co_ci_u32_e32 v6, vcc_lo, v10, v6, vcc_lo
	global_load_b64 v[5:6], v[5:6], off glc
	s_waitcnt vmcnt(0)
	global_atomic_cmpswap_b64 v[9:10], v4, v[5:8], s[4:5] offset:24 glc
	s_waitcnt vmcnt(0)
	buffer_gl1_inv
	buffer_gl0_inv
	v_cmpx_ne_u64_e64 v[9:10], v[7:8]
	s_cbranch_execz .LBB6_1412
; %bb.1409:
	s_mov_b32 s6, 0
.LBB6_1410:                             ; =>This Inner Loop Header: Depth=1
	s_sleep 1
	s_clause 0x1
	global_load_b64 v[5:6], v4, s[4:5] offset:40
	global_load_b64 v[11:12], v4, s[4:5]
	v_dual_mov_b32 v7, v9 :: v_dual_mov_b32 v8, v10
	s_waitcnt vmcnt(1)
	s_delay_alu instid0(VALU_DEP_1) | instskip(NEXT) | instid1(VALU_DEP_2)
	v_and_b32_e32 v5, v5, v7
	v_and_b32_e32 v6, v6, v8
	s_waitcnt vmcnt(0)
	s_delay_alu instid0(VALU_DEP_2) | instskip(NEXT) | instid1(VALU_DEP_1)
	v_mad_u64_u32 v[9:10], null, v5, 24, v[11:12]
	v_mov_b32_e32 v5, v10
	s_delay_alu instid0(VALU_DEP_1)
	v_mad_u64_u32 v[10:11], null, v6, 24, v[5:6]
	global_load_b64 v[5:6], v[9:10], off glc
	s_waitcnt vmcnt(0)
	global_atomic_cmpswap_b64 v[9:10], v4, v[5:8], s[4:5] offset:24 glc
	s_waitcnt vmcnt(0)
	buffer_gl1_inv
	buffer_gl0_inv
	v_cmp_eq_u64_e32 vcc_lo, v[9:10], v[7:8]
	s_or_b32 s6, vcc_lo, s6
	s_delay_alu instid0(SALU_CYCLE_1)
	s_and_not1_b32 exec_lo, exec_lo, s6
	s_cbranch_execnz .LBB6_1410
; %bb.1411:
	s_or_b32 exec_lo, exec_lo, s6
.LBB6_1412:
	s_delay_alu instid0(SALU_CYCLE_1)
	s_or_b32 exec_lo, exec_lo, s3
.LBB6_1413:
	s_delay_alu instid0(SALU_CYCLE_1)
	s_or_b32 exec_lo, exec_lo, s2
	v_mov_b32_e32 v4, 0
	v_readfirstlane_b32 s2, v9
	v_readfirstlane_b32 s3, v10
	s_mov_b32 s8, exec_lo
	s_clause 0x1
	global_load_b64 v[11:12], v4, s[4:5] offset:40
	global_load_b128 v[5:8], v4, s[4:5]
	s_waitcnt vmcnt(1)
	v_readfirstlane_b32 s6, v11
	v_readfirstlane_b32 s7, v12
	s_delay_alu instid0(VALU_DEP_1) | instskip(NEXT) | instid1(SALU_CYCLE_1)
	s_and_b64 s[6:7], s[2:3], s[6:7]
	s_mul_i32 s9, s7, 24
	s_mul_hi_u32 s10, s6, 24
	s_mul_i32 s11, s6, 24
	s_add_i32 s10, s10, s9
	s_waitcnt vmcnt(0)
	v_add_co_u32 v9, vcc_lo, v5, s11
	v_add_co_ci_u32_e32 v10, vcc_lo, s10, v6, vcc_lo
	s_and_saveexec_b32 s9, s1
	s_cbranch_execz .LBB6_1415
; %bb.1414:
	v_dual_mov_b32 v11, s8 :: v_dual_mov_b32 v12, v4
	v_dual_mov_b32 v13, 2 :: v_dual_mov_b32 v14, 1
	global_store_b128 v[9:10], v[11:14], off offset:8
.LBB6_1415:
	s_or_b32 exec_lo, exec_lo, s9
	s_lshl_b64 s[6:7], s[6:7], 12
	s_mov_b32 s8, 0
	v_add_co_u32 v7, vcc_lo, v7, s6
	v_add_co_ci_u32_e32 v8, vcc_lo, s7, v8, vcc_lo
	s_mov_b32 s11, s8
	s_mov_b32 s9, s8
	s_mov_b32 s10, s8
	v_and_or_b32 v1, 0xffffff1d, v1, 34
	v_readfirstlane_b32 s6, v7
	v_readfirstlane_b32 s7, v8
	v_dual_mov_b32 v14, s11 :: v_dual_mov_b32 v13, s10
	v_dual_mov_b32 v12, s9 :: v_dual_mov_b32 v11, s8
	s_clause 0x3
	global_store_b128 v35, v[1:4], s[6:7]
	global_store_b128 v35, v[11:14], s[6:7] offset:16
	global_store_b128 v35, v[11:14], s[6:7] offset:32
	;; [unrolled: 1-line block ×3, first 2 shown]
	s_and_saveexec_b32 s6, s1
	s_cbranch_execz .LBB6_1423
; %bb.1416:
	v_dual_mov_b32 v7, 0 :: v_dual_mov_b32 v12, s3
	v_mov_b32_e32 v11, s2
	s_clause 0x1
	global_load_b64 v[13:14], v7, s[4:5] offset:32 glc
	global_load_b64 v[1:2], v7, s[4:5] offset:40
	s_waitcnt vmcnt(0)
	v_readfirstlane_b32 s8, v1
	v_readfirstlane_b32 s9, v2
	s_delay_alu instid0(VALU_DEP_1) | instskip(NEXT) | instid1(SALU_CYCLE_1)
	s_and_b64 s[8:9], s[8:9], s[2:3]
	s_mul_i32 s7, s9, 24
	s_mul_hi_u32 s9, s8, 24
	s_mul_i32 s8, s8, 24
	s_add_i32 s9, s9, s7
	v_add_co_u32 v5, vcc_lo, v5, s8
	v_add_co_ci_u32_e32 v6, vcc_lo, s9, v6, vcc_lo
	s_mov_b32 s7, exec_lo
	global_store_b64 v[5:6], v[13:14], off
	s_waitcnt_vscnt null, 0x0
	global_atomic_cmpswap_b64 v[3:4], v7, v[11:14], s[4:5] offset:32 glc
	s_waitcnt vmcnt(0)
	v_cmpx_ne_u64_e64 v[3:4], v[13:14]
	s_cbranch_execz .LBB6_1419
; %bb.1417:
	s_mov_b32 s8, 0
.LBB6_1418:                             ; =>This Inner Loop Header: Depth=1
	v_dual_mov_b32 v1, s2 :: v_dual_mov_b32 v2, s3
	s_sleep 1
	global_store_b64 v[5:6], v[3:4], off
	s_waitcnt_vscnt null, 0x0
	global_atomic_cmpswap_b64 v[1:2], v7, v[1:4], s[4:5] offset:32 glc
	s_waitcnt vmcnt(0)
	v_cmp_eq_u64_e32 vcc_lo, v[1:2], v[3:4]
	v_dual_mov_b32 v4, v2 :: v_dual_mov_b32 v3, v1
	s_or_b32 s8, vcc_lo, s8
	s_delay_alu instid0(SALU_CYCLE_1)
	s_and_not1_b32 exec_lo, exec_lo, s8
	s_cbranch_execnz .LBB6_1418
.LBB6_1419:
	s_or_b32 exec_lo, exec_lo, s7
	v_mov_b32_e32 v4, 0
	s_mov_b32 s8, exec_lo
	s_mov_b32 s7, exec_lo
	v_mbcnt_lo_u32_b32 v3, s8, 0
	global_load_b64 v[1:2], v4, s[4:5] offset:16
	v_cmpx_eq_u32_e32 0, v3
	s_cbranch_execz .LBB6_1421
; %bb.1420:
	s_bcnt1_i32_b32 s8, s8
	s_delay_alu instid0(SALU_CYCLE_1)
	v_mov_b32_e32 v3, s8
	s_waitcnt vmcnt(0)
	global_atomic_add_u64 v[1:2], v[3:4], off offset:8
.LBB6_1421:
	s_or_b32 exec_lo, exec_lo, s7
	s_waitcnt vmcnt(0)
	global_load_b64 v[3:4], v[1:2], off offset:16
	s_waitcnt vmcnt(0)
	v_cmp_eq_u64_e32 vcc_lo, 0, v[3:4]
	s_cbranch_vccnz .LBB6_1423
; %bb.1422:
	global_load_b32 v1, v[1:2], off offset:24
	s_waitcnt vmcnt(0)
	v_dual_mov_b32 v2, 0 :: v_dual_and_b32 v5, 0xffffff, v1
	s_waitcnt_vscnt null, 0x0
	global_store_b64 v[3:4], v[1:2], off
	v_readfirstlane_b32 m0, v5
	s_sendmsg sendmsg(MSG_INTERRUPT)
.LBB6_1423:
	s_or_b32 exec_lo, exec_lo, s6
	s_branch .LBB6_1425
.LBB6_1424:
	s_branch .LBB6_1429
.LBB6_1425:                             ; =>This Inner Loop Header: Depth=1
	v_mov_b32_e32 v1, 1
	s_and_saveexec_b32 s6, s1
	s_cbranch_execz .LBB6_1427
; %bb.1426:                             ;   in Loop: Header=BB6_1425 Depth=1
	global_load_b32 v1, v[9:10], off offset:20 glc
	s_waitcnt vmcnt(0)
	buffer_gl1_inv
	buffer_gl0_inv
	v_and_b32_e32 v1, 1, v1
.LBB6_1427:                             ;   in Loop: Header=BB6_1425 Depth=1
	s_or_b32 exec_lo, exec_lo, s6
	s_delay_alu instid0(VALU_DEP_1) | instskip(NEXT) | instid1(VALU_DEP_1)
	v_readfirstlane_b32 s6, v1
	s_cmp_eq_u32 s6, 0
	s_cbranch_scc1 .LBB6_1424
; %bb.1428:                             ;   in Loop: Header=BB6_1425 Depth=1
	s_sleep 1
	s_cbranch_execnz .LBB6_1425
.LBB6_1429:
	s_and_b32 exec_lo, exec_lo, s1
	s_cbranch_execz .LBB6_1433
; %bb.1430:
	v_mov_b32_e32 v7, 0
	s_clause 0x2
	global_load_b64 v[3:4], v7, s[4:5] offset:40
	global_load_b64 v[8:9], v7, s[4:5] offset:24 glc
	global_load_b64 v[5:6], v7, s[4:5]
	s_waitcnt vmcnt(2)
	v_add_co_u32 v10, vcc_lo, v3, 1
	v_add_co_ci_u32_e32 v11, vcc_lo, 0, v4, vcc_lo
	s_delay_alu instid0(VALU_DEP_2) | instskip(NEXT) | instid1(VALU_DEP_2)
	v_add_co_u32 v1, vcc_lo, v10, s2
	v_add_co_ci_u32_e32 v2, vcc_lo, s3, v11, vcc_lo
	s_delay_alu instid0(VALU_DEP_1) | instskip(SKIP_1) | instid1(VALU_DEP_1)
	v_cmp_eq_u64_e32 vcc_lo, 0, v[1:2]
	v_dual_cndmask_b32 v2, v2, v11 :: v_dual_cndmask_b32 v1, v1, v10
	v_and_b32_e32 v4, v2, v4
	s_delay_alu instid0(VALU_DEP_2) | instskip(NEXT) | instid1(VALU_DEP_2)
	v_and_b32_e32 v3, v1, v3
	v_mul_lo_u32 v4, v4, 24
	s_delay_alu instid0(VALU_DEP_2) | instskip(SKIP_1) | instid1(VALU_DEP_2)
	v_mul_hi_u32 v10, v3, 24
	v_mul_lo_u32 v3, v3, 24
	v_add_nc_u32_e32 v4, v10, v4
	s_waitcnt vmcnt(0)
	s_delay_alu instid0(VALU_DEP_2) | instskip(SKIP_1) | instid1(VALU_DEP_3)
	v_add_co_u32 v5, vcc_lo, v5, v3
	v_mov_b32_e32 v3, v8
	v_add_co_ci_u32_e32 v6, vcc_lo, v6, v4, vcc_lo
	v_mov_b32_e32 v4, v9
	global_store_b64 v[5:6], v[8:9], off
	s_waitcnt_vscnt null, 0x0
	global_atomic_cmpswap_b64 v[3:4], v7, v[1:4], s[4:5] offset:24 glc
	s_waitcnt vmcnt(0)
	v_cmp_ne_u64_e32 vcc_lo, v[3:4], v[8:9]
	s_and_b32 exec_lo, exec_lo, vcc_lo
	s_cbranch_execz .LBB6_1433
; %bb.1431:
	s_mov_b32 s1, 0
.LBB6_1432:                             ; =>This Inner Loop Header: Depth=1
	s_sleep 1
	global_store_b64 v[5:6], v[3:4], off
	s_waitcnt_vscnt null, 0x0
	global_atomic_cmpswap_b64 v[8:9], v7, v[1:4], s[4:5] offset:24 glc
	s_waitcnt vmcnt(0)
	v_cmp_eq_u64_e32 vcc_lo, v[8:9], v[3:4]
	v_dual_mov_b32 v3, v8 :: v_dual_mov_b32 v4, v9
	s_or_b32 s1, vcc_lo, s1
	s_delay_alu instid0(SALU_CYCLE_1)
	s_and_not1_b32 exec_lo, exec_lo, s1
	s_cbranch_execnz .LBB6_1432
.LBB6_1433:
	s_or_b32 exec_lo, exec_lo, s16
	v_or_b32_e32 v0, v0, v40
	s_xor_b32 s0, s0, -1
	s_mov_b32 s19, 0
                                        ; implicit-def: $vgpr40
	s_delay_alu instid0(VALU_DEP_1) | instskip(SKIP_1) | instid1(SALU_CYCLE_1)
	v_cmp_lt_i32_e32 vcc_lo, -1, v0
	s_and_b32 s0, vcc_lo, s0
	s_and_saveexec_b32 s1, s0
	s_delay_alu instid0(SALU_CYCLE_1)
	s_xor_b32 s0, exec_lo, s1
	s_cbranch_execz .LBB6_1435
; %bb.1434:
	flat_load_b32 v0, v[44:45]
	v_lshl_or_b32 v32, v34, 1, 1
	s_mov_b32 s19, exec_lo
	s_waitcnt vmcnt(0) lgkmcnt(0)
	v_ashrrev_i32_e32 v1, 31, v0
	v_add_nc_u32_e32 v3, 1, v0
	v_lshl_or_b32 v40, v0, 1, 1
	s_delay_alu instid0(VALU_DEP_3) | instskip(NEXT) | instid1(VALU_DEP_1)
	v_lshlrev_b64 v[1:2], 3, v[0:1]
	v_add_co_u32 v1, vcc_lo, v44, v1
	s_delay_alu instid0(VALU_DEP_2)
	v_add_co_ci_u32_e32 v2, vcc_lo, v45, v2, vcc_lo
	s_clause 0x1
	flat_store_b32 v[44:45], v3
	flat_store_b64 v[1:2], v[32:33] offset:8
.LBB6_1435:
	s_or_saveexec_b32 s20, s0
	s_mov_b32 s0, s17
	s_xor_b32 exec_lo, exec_lo, s20
	s_cbranch_execz .LBB6_1437
; %bb.1436:
	s_getpc_b64 s[0:1]
	s_add_u32 s0, s0, .str.46@rel32@lo+4
	s_addc_u32 s1, s1, .str.46@rel32@hi+12
	s_getpc_b64 s[2:3]
	s_add_u32 s2, s2, .str.44@rel32@lo+4
	s_addc_u32 s3, s3, .str.44@rel32@hi+12
	s_getpc_b64 s[4:5]
	s_add_u32 s4, s4, __PRETTY_FUNCTION__._ZN8subgUtil18formAndNodeKeyFlagEiii@rel32@lo+4
	s_addc_u32 s5, s5, __PRETTY_FUNCTION__._ZN8subgUtil18formAndNodeKeyFlagEiii@rel32@hi+12
	v_dual_mov_b32 v0, s0 :: v_dual_mov_b32 v1, s1
	v_dual_mov_b32 v2, s2 :: v_dual_mov_b32 v3, s3
	;; [unrolled: 1-line block ×3, first 2 shown]
	v_mov_b32_e32 v6, s5
	s_mov_b64 s[8:9], s[44:45]
	s_getpc_b64 s[6:7]
	s_add_u32 s6, s6, __assert_fail@rel32@lo+4
	s_addc_u32 s7, s7, __assert_fail@rel32@hi+12
	s_delay_alu instid0(SALU_CYCLE_1)
	s_swappc_b64 s[30:31], s[6:7]
	s_or_b32 s0, s17, exec_lo
                                        ; implicit-def: $vgpr40
.LBB6_1437:
	s_or_b32 exec_lo, exec_lo, s20
	s_delay_alu instid0(SALU_CYCLE_1) | instskip(SKIP_1) | instid1(SALU_CYCLE_1)
	s_and_not1_b32 s1, s17, exec_lo
	s_and_b32 s0, s0, exec_lo
	s_or_b32 s17, s1, s0
	s_and_b32 s1, s19, exec_lo
.LBB6_1438:
	s_or_b32 exec_lo, exec_lo, s18
	v_readlane_b32 s21, v56, 12
	v_readlane_b32 s22, v56, 11
	;; [unrolled: 1-line block ×13, first 2 shown]
	s_and_not1_b32 s0, s35, exec_lo
	s_and_b32 s2, s17, exec_lo
	s_or_not1_b32 s1, s1, exec_lo
	s_or_b32 s0, s0, s2
.LBB6_1439:
	s_or_b32 exec_lo, exec_lo, s38
	s_mov_b32 s3, s41
	s_and_saveexec_b32 s2, s1
; %bb.1440:
	s_or_b32 s3, s41, exec_lo
; %bb.1441:
	s_or_b32 exec_lo, exec_lo, s2
	s_delay_alu instid0(SALU_CYCLE_1)
	s_and_not1_b32 s1, s35, exec_lo
	s_and_b32 s0, s0, exec_lo
	s_and_b32 s3, s3, exec_lo
	s_or_b32 s2, s1, s0
	s_and_not1_b32 s1, s41, exec_lo
	s_xor_b32 s0, exec_lo, -1
	s_or_b32 s1, s1, s3
.LBB6_1442:
	s_or_b32 exec_lo, exec_lo, s37
	s_delay_alu instid0(SALU_CYCLE_1)
	s_and_not1_b32 s3, s35, exec_lo
	s_and_b32 s2, s2, exec_lo
	s_and_b32 s1, s1, exec_lo
	s_or_b32 s35, s3, s2
	s_and_not1_b32 s2, s41, exec_lo
	s_and_b32 s0, s0, exec_lo
	s_or_b32 s1, s2, s1
.LBB6_1443:
	s_or_b32 exec_lo, exec_lo, s36
	s_delay_alu instid0(SALU_CYCLE_1)
	s_and_not1_b32 s2, s51, exec_lo
	s_and_b32 s3, s35, exec_lo
	s_and_b32 s1, s1, exec_lo
	s_or_b32 s51, s2, s3
	s_and_not1_b32 s2, s41, exec_lo
	s_and_b32 s0, s0, exec_lo
	s_or_b32 s1, s2, s1
.LBB6_1444:
	s_or_b32 exec_lo, exec_lo, s52
	s_delay_alu instid0(SALU_CYCLE_1)
	s_and_not1_b32 s2, s49, exec_lo
	s_and_b32 s3, s51, exec_lo
	s_and_b32 s1, s1, exec_lo
	s_or_b32 s49, s2, s3
	s_and_not1_b32 s2, s41, exec_lo
	s_and_b32 s0, s0, exec_lo
	s_or_b32 s2, s2, s1
.LBB6_1445:
	s_or_b32 exec_lo, exec_lo, s50
	s_delay_alu instid0(SALU_CYCLE_1)
	s_and_not1_b32 s1, s26, exec_lo
	s_and_b32 s3, s49, exec_lo
	s_and_not1_b32 s4, s41, exec_lo
	s_and_b32 s2, s2, exec_lo
	s_or_b32 s3, s1, s3
	s_xor_b32 s1, exec_lo, -1
	s_and_b32 s0, s0, exec_lo
	s_or_b32 s2, s4, s2
.LBB6_1446:
	s_or_b32 exec_lo, exec_lo, s48
	s_delay_alu instid0(SALU_CYCLE_1)
	s_and_not1_b32 s4, s26, exec_lo
	s_and_b32 s3, s3, exec_lo
	s_and_b32 s36, s1, exec_lo
	s_and_not1_b32 s1, s41, exec_lo
	s_and_b32 s2, s2, exec_lo
	s_or_b32 s26, s4, s3
	s_and_b32 s35, s0, exec_lo
	s_or_b32 s41, s1, s2
.LBB6_1447:
	s_or_b32 exec_lo, exec_lo, s27
	s_and_saveexec_b32 s0, s41
	s_delay_alu instid0(SALU_CYCLE_1) | instskip(SKIP_1) | instid1(SALU_CYCLE_1)
	s_or_b32 exec_lo, exec_lo, s0
	s_and_saveexec_b32 s0, s35
	s_xor_b32 s17, exec_lo, s0
	s_cbranch_execz .LBB6_1449
; %bb.1448:
	s_getpc_b64 s[0:1]
	s_add_u32 s0, s0, .str.46@rel32@lo+4
	s_addc_u32 s1, s1, .str.46@rel32@hi+12
	s_getpc_b64 s[2:3]
	s_add_u32 s2, s2, .str.44@rel32@lo+4
	s_addc_u32 s3, s3, .str.44@rel32@hi+12
	s_getpc_b64 s[4:5]
	s_add_u32 s4, s4, __PRETTY_FUNCTION__._ZN8subgUtil18formAndNodeKeyFlagEiii@rel32@lo+4
	s_addc_u32 s5, s5, __PRETTY_FUNCTION__._ZN8subgUtil18formAndNodeKeyFlagEiii@rel32@hi+12
	v_dual_mov_b32 v0, s0 :: v_dual_mov_b32 v1, s1
	v_dual_mov_b32 v2, s2 :: v_dual_mov_b32 v3, s3
	s_waitcnt lgkmcnt(0)
	v_dual_mov_b32 v4, 35 :: v_dual_mov_b32 v5, s4
	v_mov_b32_e32 v6, s5
	s_mov_b64 s[8:9], s[44:45]
	s_getpc_b64 s[6:7]
	s_add_u32 s6, s6, __assert_fail@rel32@lo+4
	s_addc_u32 s7, s7, __assert_fail@rel32@hi+12
	s_delay_alu instid0(SALU_CYCLE_1)
	s_swappc_b64 s[30:31], s[6:7]
	s_or_b32 s26, s26, exec_lo
                                        ; implicit-def: $vgpr40
.LBB6_1449:
	s_or_b32 exec_lo, exec_lo, s17
	s_and_saveexec_b32 s17, s36
	s_cbranch_execz .LBB6_1591
; %bb.1450:
	s_load_b64 s[2:3], s[44:45], 0x50
	v_mbcnt_lo_u32_b32 v29, -1, 0
	v_mov_b32_e32 v6, 0
	v_mov_b32_e32 v7, 0
	s_delay_alu instid0(VALU_DEP_3) | instskip(NEXT) | instid1(VALU_DEP_1)
	v_readfirstlane_b32 s0, v29
	v_cmp_eq_u32_e64 s0, s0, v29
	s_delay_alu instid0(VALU_DEP_1)
	s_and_saveexec_b32 s1, s0
	s_cbranch_execz .LBB6_1456
; %bb.1451:
	v_mov_b32_e32 v0, 0
	s_mov_b32 s4, exec_lo
	s_waitcnt lgkmcnt(0)
	global_load_b64 v[3:4], v0, s[2:3] offset:24 glc
	s_waitcnt vmcnt(0)
	buffer_gl1_inv
	buffer_gl0_inv
	s_clause 0x1
	global_load_b64 v[1:2], v0, s[2:3] offset:40
	global_load_b64 v[5:6], v0, s[2:3]
	s_waitcnt vmcnt(1)
	v_and_b32_e32 v1, v1, v3
	v_and_b32_e32 v2, v2, v4
	s_delay_alu instid0(VALU_DEP_2) | instskip(NEXT) | instid1(VALU_DEP_2)
	v_mul_hi_u32 v7, v1, 24
	v_mul_lo_u32 v2, v2, 24
	v_mul_lo_u32 v1, v1, 24
	s_delay_alu instid0(VALU_DEP_2) | instskip(SKIP_1) | instid1(VALU_DEP_2)
	v_add_nc_u32_e32 v2, v7, v2
	s_waitcnt vmcnt(0)
	v_add_co_u32 v1, vcc_lo, v5, v1
	s_delay_alu instid0(VALU_DEP_2)
	v_add_co_ci_u32_e32 v2, vcc_lo, v6, v2, vcc_lo
	global_load_b64 v[1:2], v[1:2], off glc
	s_waitcnt vmcnt(0)
	global_atomic_cmpswap_b64 v[6:7], v0, v[1:4], s[2:3] offset:24 glc
	s_waitcnt vmcnt(0)
	buffer_gl1_inv
	buffer_gl0_inv
	v_cmpx_ne_u64_e64 v[6:7], v[3:4]
	s_cbranch_execz .LBB6_1455
; %bb.1452:
	s_mov_b32 s5, 0
.LBB6_1453:                             ; =>This Inner Loop Header: Depth=1
	s_sleep 1
	s_clause 0x1
	global_load_b64 v[1:2], v0, s[2:3] offset:40
	global_load_b64 v[8:9], v0, s[2:3]
	v_dual_mov_b32 v3, v6 :: v_dual_mov_b32 v4, v7
	s_waitcnt vmcnt(1)
	s_delay_alu instid0(VALU_DEP_1) | instskip(NEXT) | instid1(VALU_DEP_2)
	v_and_b32_e32 v1, v1, v3
	v_and_b32_e32 v2, v2, v4
	s_waitcnt vmcnt(0)
	s_delay_alu instid0(VALU_DEP_2) | instskip(NEXT) | instid1(VALU_DEP_1)
	v_mad_u64_u32 v[5:6], null, v1, 24, v[8:9]
	v_mov_b32_e32 v1, v6
	s_delay_alu instid0(VALU_DEP_1)
	v_mad_u64_u32 v[6:7], null, v2, 24, v[1:2]
	global_load_b64 v[1:2], v[5:6], off glc
	s_waitcnt vmcnt(0)
	global_atomic_cmpswap_b64 v[6:7], v0, v[1:4], s[2:3] offset:24 glc
	s_waitcnt vmcnt(0)
	buffer_gl1_inv
	buffer_gl0_inv
	v_cmp_eq_u64_e32 vcc_lo, v[6:7], v[3:4]
	s_or_b32 s5, vcc_lo, s5
	s_delay_alu instid0(SALU_CYCLE_1)
	s_and_not1_b32 exec_lo, exec_lo, s5
	s_cbranch_execnz .LBB6_1453
; %bb.1454:
	s_or_b32 exec_lo, exec_lo, s5
.LBB6_1455:
	s_delay_alu instid0(SALU_CYCLE_1)
	s_or_b32 exec_lo, exec_lo, s4
.LBB6_1456:
	s_delay_alu instid0(SALU_CYCLE_1)
	s_or_b32 exec_lo, exec_lo, s1
	v_mov_b32_e32 v5, 0
	v_readfirstlane_b32 s4, v6
	v_readfirstlane_b32 s5, v7
	s_mov_b32 s1, exec_lo
	s_waitcnt lgkmcnt(0)
	s_clause 0x1
	global_load_b64 v[8:9], v5, s[2:3] offset:40
	global_load_b128 v[0:3], v5, s[2:3]
	s_waitcnt vmcnt(1)
	v_readfirstlane_b32 s6, v8
	v_readfirstlane_b32 s7, v9
	s_delay_alu instid0(VALU_DEP_1) | instskip(NEXT) | instid1(SALU_CYCLE_1)
	s_and_b64 s[6:7], s[4:5], s[6:7]
	s_mul_i32 s8, s7, 24
	s_mul_hi_u32 s9, s6, 24
	s_mul_i32 s10, s6, 24
	s_add_i32 s9, s9, s8
	s_waitcnt vmcnt(0)
	v_add_co_u32 v8, vcc_lo, v0, s10
	v_add_co_ci_u32_e32 v9, vcc_lo, s9, v1, vcc_lo
	s_and_saveexec_b32 s8, s0
	s_cbranch_execz .LBB6_1458
; %bb.1457:
	v_dual_mov_b32 v4, s1 :: v_dual_mov_b32 v7, 1
	v_mov_b32_e32 v6, 2
	global_store_b128 v[8:9], v[4:7], off offset:8
.LBB6_1458:
	s_or_b32 exec_lo, exec_lo, s8
	s_lshl_b64 s[6:7], s[6:7], 12
	v_dual_mov_b32 v7, v5 :: v_dual_lshlrev_b32 v28, 6, v29
	v_add_co_u32 v2, vcc_lo, v2, s6
	v_add_co_ci_u32_e32 v3, vcc_lo, s7, v3, vcc_lo
	s_mov_b32 s8, 0
	s_delay_alu instid0(VALU_DEP_2)
	v_add_co_u32 v10, vcc_lo, v2, v28
	s_mov_b32 s11, s8
	s_mov_b32 s9, s8
	;; [unrolled: 1-line block ×3, first 2 shown]
	v_dual_mov_b32 v4, 33 :: v_dual_mov_b32 v15, s11
	v_dual_mov_b32 v6, v5 :: v_dual_mov_b32 v13, s9
	v_readfirstlane_b32 s6, v2
	v_readfirstlane_b32 s7, v3
	v_add_co_ci_u32_e32 v11, vcc_lo, 0, v3, vcc_lo
	v_mov_b32_e32 v14, s10
	v_mov_b32_e32 v12, s8
	s_clause 0x3
	global_store_b128 v28, v[4:7], s[6:7]
	global_store_b128 v28, v[12:15], s[6:7] offset:16
	global_store_b128 v28, v[12:15], s[6:7] offset:32
	;; [unrolled: 1-line block ×3, first 2 shown]
	s_and_saveexec_b32 s1, s0
	s_cbranch_execz .LBB6_1466
; %bb.1459:
	v_mov_b32_e32 v6, 0
	s_mov_b32 s6, exec_lo
	s_clause 0x1
	global_load_b64 v[14:15], v6, s[2:3] offset:32 glc
	global_load_b64 v[2:3], v6, s[2:3] offset:40
	v_dual_mov_b32 v13, s5 :: v_dual_mov_b32 v12, s4
	s_waitcnt vmcnt(0)
	v_and_b32_e32 v3, s5, v3
	v_and_b32_e32 v2, s4, v2
	s_delay_alu instid0(VALU_DEP_2) | instskip(NEXT) | instid1(VALU_DEP_2)
	v_mul_lo_u32 v3, v3, 24
	v_mul_hi_u32 v4, v2, 24
	v_mul_lo_u32 v2, v2, 24
	s_delay_alu instid0(VALU_DEP_2) | instskip(NEXT) | instid1(VALU_DEP_2)
	v_add_nc_u32_e32 v3, v4, v3
	v_add_co_u32 v4, vcc_lo, v0, v2
	s_delay_alu instid0(VALU_DEP_2)
	v_add_co_ci_u32_e32 v5, vcc_lo, v1, v3, vcc_lo
	global_store_b64 v[4:5], v[14:15], off
	s_waitcnt_vscnt null, 0x0
	global_atomic_cmpswap_b64 v[2:3], v6, v[12:15], s[2:3] offset:32 glc
	s_waitcnt vmcnt(0)
	v_cmpx_ne_u64_e64 v[2:3], v[14:15]
	s_cbranch_execz .LBB6_1462
; %bb.1460:
	s_mov_b32 s7, 0
.LBB6_1461:                             ; =>This Inner Loop Header: Depth=1
	v_dual_mov_b32 v0, s4 :: v_dual_mov_b32 v1, s5
	s_sleep 1
	global_store_b64 v[4:5], v[2:3], off
	s_waitcnt_vscnt null, 0x0
	global_atomic_cmpswap_b64 v[0:1], v6, v[0:3], s[2:3] offset:32 glc
	s_waitcnt vmcnt(0)
	v_cmp_eq_u64_e32 vcc_lo, v[0:1], v[2:3]
	v_dual_mov_b32 v3, v1 :: v_dual_mov_b32 v2, v0
	s_or_b32 s7, vcc_lo, s7
	s_delay_alu instid0(SALU_CYCLE_1)
	s_and_not1_b32 exec_lo, exec_lo, s7
	s_cbranch_execnz .LBB6_1461
.LBB6_1462:
	s_or_b32 exec_lo, exec_lo, s6
	v_mov_b32_e32 v3, 0
	s_mov_b32 s7, exec_lo
	s_mov_b32 s6, exec_lo
	v_mbcnt_lo_u32_b32 v2, s7, 0
	global_load_b64 v[0:1], v3, s[2:3] offset:16
	v_cmpx_eq_u32_e32 0, v2
	s_cbranch_execz .LBB6_1464
; %bb.1463:
	s_bcnt1_i32_b32 s7, s7
	s_delay_alu instid0(SALU_CYCLE_1)
	v_mov_b32_e32 v2, s7
	s_waitcnt vmcnt(0)
	global_atomic_add_u64 v[0:1], v[2:3], off offset:8
.LBB6_1464:
	s_or_b32 exec_lo, exec_lo, s6
	s_waitcnt vmcnt(0)
	global_load_b64 v[2:3], v[0:1], off offset:16
	s_waitcnt vmcnt(0)
	v_cmp_eq_u64_e32 vcc_lo, 0, v[2:3]
	s_cbranch_vccnz .LBB6_1466
; %bb.1465:
	global_load_b32 v0, v[0:1], off offset:24
	s_waitcnt vmcnt(0)
	v_dual_mov_b32 v1, 0 :: v_dual_and_b32 v4, 0xffffff, v0
	s_waitcnt_vscnt null, 0x0
	global_store_b64 v[2:3], v[0:1], off
	v_readfirstlane_b32 m0, v4
	s_sendmsg sendmsg(MSG_INTERRUPT)
.LBB6_1466:
	s_or_b32 exec_lo, exec_lo, s1
	s_branch .LBB6_1468
.LBB6_1467:
	s_branch .LBB6_1472
.LBB6_1468:                             ; =>This Inner Loop Header: Depth=1
	v_mov_b32_e32 v0, 1
	s_and_saveexec_b32 s1, s0
	s_cbranch_execz .LBB6_1470
; %bb.1469:                             ;   in Loop: Header=BB6_1468 Depth=1
	global_load_b32 v0, v[8:9], off offset:20 glc
	s_waitcnt vmcnt(0)
	buffer_gl1_inv
	buffer_gl0_inv
	v_and_b32_e32 v0, 1, v0
.LBB6_1470:                             ;   in Loop: Header=BB6_1468 Depth=1
	s_or_b32 exec_lo, exec_lo, s1
	s_delay_alu instid0(VALU_DEP_1) | instskip(NEXT) | instid1(VALU_DEP_1)
	v_readfirstlane_b32 s1, v0
	s_cmp_eq_u32 s1, 0
	s_cbranch_scc1 .LBB6_1467
; %bb.1471:                             ;   in Loop: Header=BB6_1468 Depth=1
	s_sleep 1
	s_cbranch_execnz .LBB6_1468
.LBB6_1472:
	global_load_b64 v[0:1], v[10:11], off
	s_and_saveexec_b32 s1, s0
	s_cbranch_execz .LBB6_1476
; %bb.1473:
	v_mov_b32_e32 v8, 0
	s_clause 0x2
	global_load_b64 v[4:5], v8, s[2:3] offset:40
	global_load_b64 v[9:10], v8, s[2:3] offset:24 glc
	global_load_b64 v[6:7], v8, s[2:3]
	s_waitcnt vmcnt(2)
	v_add_co_u32 v11, vcc_lo, v4, 1
	v_add_co_ci_u32_e32 v12, vcc_lo, 0, v5, vcc_lo
	s_delay_alu instid0(VALU_DEP_2) | instskip(NEXT) | instid1(VALU_DEP_2)
	v_add_co_u32 v2, vcc_lo, v11, s4
	v_add_co_ci_u32_e32 v3, vcc_lo, s5, v12, vcc_lo
	s_delay_alu instid0(VALU_DEP_1) | instskip(SKIP_1) | instid1(VALU_DEP_1)
	v_cmp_eq_u64_e32 vcc_lo, 0, v[2:3]
	v_dual_cndmask_b32 v3, v3, v12 :: v_dual_cndmask_b32 v2, v2, v11
	v_and_b32_e32 v5, v3, v5
	s_delay_alu instid0(VALU_DEP_2) | instskip(NEXT) | instid1(VALU_DEP_2)
	v_and_b32_e32 v4, v2, v4
	v_mul_lo_u32 v5, v5, 24
	s_delay_alu instid0(VALU_DEP_2) | instskip(SKIP_1) | instid1(VALU_DEP_2)
	v_mul_hi_u32 v11, v4, 24
	v_mul_lo_u32 v4, v4, 24
	v_add_nc_u32_e32 v5, v11, v5
	s_waitcnt vmcnt(0)
	s_delay_alu instid0(VALU_DEP_2) | instskip(SKIP_1) | instid1(VALU_DEP_3)
	v_add_co_u32 v6, vcc_lo, v6, v4
	v_mov_b32_e32 v4, v9
	v_add_co_ci_u32_e32 v7, vcc_lo, v7, v5, vcc_lo
	v_mov_b32_e32 v5, v10
	global_store_b64 v[6:7], v[9:10], off
	s_waitcnt_vscnt null, 0x0
	global_atomic_cmpswap_b64 v[4:5], v8, v[2:5], s[2:3] offset:24 glc
	s_waitcnt vmcnt(0)
	v_cmp_ne_u64_e32 vcc_lo, v[4:5], v[9:10]
	s_and_b32 exec_lo, exec_lo, vcc_lo
	s_cbranch_execz .LBB6_1476
; %bb.1474:
	s_mov_b32 s0, 0
.LBB6_1475:                             ; =>This Inner Loop Header: Depth=1
	s_sleep 1
	global_store_b64 v[6:7], v[4:5], off
	s_waitcnt_vscnt null, 0x0
	global_atomic_cmpswap_b64 v[9:10], v8, v[2:5], s[2:3] offset:24 glc
	s_waitcnt vmcnt(0)
	v_cmp_eq_u64_e32 vcc_lo, v[9:10], v[4:5]
	v_dual_mov_b32 v4, v9 :: v_dual_mov_b32 v5, v10
	s_or_b32 s0, vcc_lo, s0
	s_delay_alu instid0(SALU_CYCLE_1)
	s_and_not1_b32 exec_lo, exec_lo, s0
	s_cbranch_execnz .LBB6_1475
.LBB6_1476:
	s_or_b32 exec_lo, exec_lo, s1
	s_getpc_b64 s[4:5]
	s_add_u32 s4, s4, .str.28@rel32@lo+4
	s_addc_u32 s5, s5, .str.28@rel32@hi+12
	s_delay_alu instid0(SALU_CYCLE_1)
	s_cmp_lg_u64 s[4:5], 0
	s_cbranch_scc0 .LBB6_1561
; %bb.1477:
	s_waitcnt vmcnt(0)
	v_dual_mov_b32 v7, v1 :: v_dual_and_b32 v6, -3, v0
	v_dual_mov_b32 v3, 0 :: v_dual_mov_b32 v4, 2
	v_mov_b32_e32 v5, 1
	s_mov_b64 s[6:7], 35
	s_branch .LBB6_1479
.LBB6_1478:                             ;   in Loop: Header=BB6_1479 Depth=1
	s_or_b32 exec_lo, exec_lo, s1
	s_sub_u32 s6, s6, s8
	s_subb_u32 s7, s7, s9
	s_add_u32 s4, s4, s8
	s_addc_u32 s5, s5, s9
	s_cmp_lg_u64 s[6:7], 0
	s_cbranch_scc0 .LBB6_1560
.LBB6_1479:                             ; =>This Loop Header: Depth=1
                                        ;     Child Loop BB6_1482 Depth 2
                                        ;     Child Loop BB6_1487 Depth 2
	;; [unrolled: 1-line block ×11, first 2 shown]
	v_cmp_lt_u64_e64 s0, s[6:7], 56
	v_cmp_gt_u64_e64 s1, s[6:7], 7
                                        ; implicit-def: $sgpr14
	s_delay_alu instid0(VALU_DEP_2) | instskip(SKIP_2) | instid1(VALU_DEP_1)
	s_and_b32 s0, s0, exec_lo
	s_cselect_b32 s9, s7, 0
	s_cselect_b32 s8, s6, 56
	s_and_b32 vcc_lo, exec_lo, s1
	s_mov_b32 s0, -1
	s_cbranch_vccnz .LBB6_1489
; %bb.1480:                             ;   in Loop: Header=BB6_1479 Depth=1
	s_waitcnt vmcnt(0)
	v_mov_b32_e32 v8, 0
	v_mov_b32_e32 v9, 0
	s_cmp_eq_u64 s[6:7], 0
	s_mov_b64 s[0:1], 0
	s_cbranch_scc1 .LBB6_1483
; %bb.1481:                             ;   in Loop: Header=BB6_1479 Depth=1
	v_mov_b32_e32 v8, 0
	v_mov_b32_e32 v9, 0
	s_lshl_b64 s[10:11], s[8:9], 3
	s_mov_b64 s[12:13], s[4:5]
.LBB6_1482:                             ;   Parent Loop BB6_1479 Depth=1
                                        ; =>  This Inner Loop Header: Depth=2
	global_load_u8 v2, v3, s[12:13]
	s_waitcnt vmcnt(0)
	v_and_b32_e32 v2, 0xffff, v2
	s_delay_alu instid0(VALU_DEP_1)
	v_lshlrev_b64 v[10:11], s0, v[2:3]
	s_add_u32 s0, s0, 8
	s_addc_u32 s1, s1, 0
	s_add_u32 s12, s12, 1
	s_addc_u32 s13, s13, 0
	s_cmp_lg_u32 s10, s0
	v_or_b32_e32 v8, v10, v8
	v_or_b32_e32 v9, v11, v9
	s_cbranch_scc1 .LBB6_1482
.LBB6_1483:                             ;   in Loop: Header=BB6_1479 Depth=1
	s_mov_b32 s14, 0
	s_mov_b64 s[0:1], s[4:5]
	s_cbranch_execz .LBB6_1490
.LBB6_1484:                             ;   in Loop: Header=BB6_1479 Depth=1
	s_cmp_gt_u32 s14, 7
	s_cbranch_scc1 .LBB6_1491
.LBB6_1485:                             ;   in Loop: Header=BB6_1479 Depth=1
	v_mov_b32_e32 v10, 0
	v_mov_b32_e32 v11, 0
	s_cmp_eq_u32 s14, 0
	s_cbranch_scc1 .LBB6_1488
; %bb.1486:                             ;   in Loop: Header=BB6_1479 Depth=1
	s_mov_b64 s[10:11], 0
	s_mov_b64 s[12:13], 0
.LBB6_1487:                             ;   Parent Loop BB6_1479 Depth=1
                                        ; =>  This Inner Loop Header: Depth=2
	s_delay_alu instid0(SALU_CYCLE_1)
	s_add_u32 vcc_lo, s0, s12
	s_addc_u32 vcc_hi, s1, s13
	s_add_u32 s12, s12, 1
	global_load_u8 v2, v3, vcc
	s_addc_u32 s13, s13, 0
	s_waitcnt vmcnt(0)
	v_and_b32_e32 v2, 0xffff, v2
	s_delay_alu instid0(VALU_DEP_1) | instskip(SKIP_3) | instid1(VALU_DEP_1)
	v_lshlrev_b64 v[12:13], s10, v[2:3]
	s_add_u32 s10, s10, 8
	s_addc_u32 s11, s11, 0
	s_cmp_lg_u32 s14, s12
	v_or_b32_e32 v10, v12, v10
	s_delay_alu instid0(VALU_DEP_2)
	v_or_b32_e32 v11, v13, v11
	s_cbranch_scc1 .LBB6_1487
.LBB6_1488:                             ;   in Loop: Header=BB6_1479 Depth=1
	s_mov_b32 s10, 0
	s_mov_b32 s15, 0
	s_branch .LBB6_1492
.LBB6_1489:                             ;   in Loop: Header=BB6_1479 Depth=1
	s_and_not1_b32 vcc_lo, exec_lo, s0
	s_mov_b64 s[0:1], s[4:5]
	s_cbranch_vccnz .LBB6_1484
.LBB6_1490:                             ;   in Loop: Header=BB6_1479 Depth=1
	global_load_b64 v[8:9], v3, s[4:5]
	s_add_i32 s14, s8, -8
	s_add_u32 s0, s4, 8
	s_addc_u32 s1, s5, 0
	s_cmp_gt_u32 s14, 7
	s_cbranch_scc0 .LBB6_1485
.LBB6_1491:                             ;   in Loop: Header=BB6_1479 Depth=1
	s_mov_b32 s10, -1
                                        ; implicit-def: $vgpr10_vgpr11
                                        ; implicit-def: $sgpr15
.LBB6_1492:                             ;   in Loop: Header=BB6_1479 Depth=1
	s_delay_alu instid0(SALU_CYCLE_1)
	s_and_not1_b32 vcc_lo, exec_lo, s10
	s_cbranch_vccnz .LBB6_1494
; %bb.1493:                             ;   in Loop: Header=BB6_1479 Depth=1
	global_load_b64 v[10:11], v3, s[0:1]
	s_add_i32 s15, s14, -8
	s_add_u32 s0, s0, 8
	s_addc_u32 s1, s1, 0
.LBB6_1494:                             ;   in Loop: Header=BB6_1479 Depth=1
	s_cmp_gt_u32 s15, 7
	s_cbranch_scc1 .LBB6_1499
; %bb.1495:                             ;   in Loop: Header=BB6_1479 Depth=1
	v_mov_b32_e32 v12, 0
	v_mov_b32_e32 v13, 0
	s_cmp_eq_u32 s15, 0
	s_cbranch_scc1 .LBB6_1498
; %bb.1496:                             ;   in Loop: Header=BB6_1479 Depth=1
	s_mov_b64 s[10:11], 0
	s_mov_b64 s[12:13], 0
.LBB6_1497:                             ;   Parent Loop BB6_1479 Depth=1
                                        ; =>  This Inner Loop Header: Depth=2
	s_delay_alu instid0(SALU_CYCLE_1)
	s_add_u32 vcc_lo, s0, s12
	s_addc_u32 vcc_hi, s1, s13
	s_add_u32 s12, s12, 1
	global_load_u8 v2, v3, vcc
	s_addc_u32 s13, s13, 0
	s_waitcnt vmcnt(0)
	v_and_b32_e32 v2, 0xffff, v2
	s_delay_alu instid0(VALU_DEP_1) | instskip(SKIP_3) | instid1(VALU_DEP_1)
	v_lshlrev_b64 v[14:15], s10, v[2:3]
	s_add_u32 s10, s10, 8
	s_addc_u32 s11, s11, 0
	s_cmp_lg_u32 s15, s12
	v_or_b32_e32 v12, v14, v12
	s_delay_alu instid0(VALU_DEP_2)
	v_or_b32_e32 v13, v15, v13
	s_cbranch_scc1 .LBB6_1497
.LBB6_1498:                             ;   in Loop: Header=BB6_1479 Depth=1
	s_mov_b32 s10, 0
	s_mov_b32 s14, 0
	s_branch .LBB6_1500
.LBB6_1499:                             ;   in Loop: Header=BB6_1479 Depth=1
	s_mov_b32 s10, -1
                                        ; implicit-def: $sgpr14
.LBB6_1500:                             ;   in Loop: Header=BB6_1479 Depth=1
	s_delay_alu instid0(SALU_CYCLE_1)
	s_and_not1_b32 vcc_lo, exec_lo, s10
	s_cbranch_vccnz .LBB6_1502
; %bb.1501:                             ;   in Loop: Header=BB6_1479 Depth=1
	global_load_b64 v[12:13], v3, s[0:1]
	s_add_i32 s14, s15, -8
	s_add_u32 s0, s0, 8
	s_addc_u32 s1, s1, 0
.LBB6_1502:                             ;   in Loop: Header=BB6_1479 Depth=1
	s_cmp_gt_u32 s14, 7
	s_cbranch_scc1 .LBB6_1507
; %bb.1503:                             ;   in Loop: Header=BB6_1479 Depth=1
	v_mov_b32_e32 v14, 0
	v_mov_b32_e32 v15, 0
	s_cmp_eq_u32 s14, 0
	s_cbranch_scc1 .LBB6_1506
; %bb.1504:                             ;   in Loop: Header=BB6_1479 Depth=1
	s_mov_b64 s[10:11], 0
	s_mov_b64 s[12:13], 0
.LBB6_1505:                             ;   Parent Loop BB6_1479 Depth=1
                                        ; =>  This Inner Loop Header: Depth=2
	s_delay_alu instid0(SALU_CYCLE_1)
	s_add_u32 vcc_lo, s0, s12
	s_addc_u32 vcc_hi, s1, s13
	s_add_u32 s12, s12, 1
	global_load_u8 v2, v3, vcc
	s_addc_u32 s13, s13, 0
	s_waitcnt vmcnt(0)
	v_and_b32_e32 v2, 0xffff, v2
	s_delay_alu instid0(VALU_DEP_1) | instskip(SKIP_3) | instid1(VALU_DEP_1)
	v_lshlrev_b64 v[16:17], s10, v[2:3]
	s_add_u32 s10, s10, 8
	s_addc_u32 s11, s11, 0
	s_cmp_lg_u32 s14, s12
	v_or_b32_e32 v14, v16, v14
	s_delay_alu instid0(VALU_DEP_2)
	v_or_b32_e32 v15, v17, v15
	s_cbranch_scc1 .LBB6_1505
.LBB6_1506:                             ;   in Loop: Header=BB6_1479 Depth=1
	s_mov_b32 s10, 0
	s_mov_b32 s15, 0
	s_branch .LBB6_1508
.LBB6_1507:                             ;   in Loop: Header=BB6_1479 Depth=1
	s_mov_b32 s10, -1
                                        ; implicit-def: $vgpr14_vgpr15
                                        ; implicit-def: $sgpr15
.LBB6_1508:                             ;   in Loop: Header=BB6_1479 Depth=1
	s_delay_alu instid0(SALU_CYCLE_1)
	s_and_not1_b32 vcc_lo, exec_lo, s10
	s_cbranch_vccnz .LBB6_1510
; %bb.1509:                             ;   in Loop: Header=BB6_1479 Depth=1
	global_load_b64 v[14:15], v3, s[0:1]
	s_add_i32 s15, s14, -8
	s_add_u32 s0, s0, 8
	s_addc_u32 s1, s1, 0
.LBB6_1510:                             ;   in Loop: Header=BB6_1479 Depth=1
	s_cmp_gt_u32 s15, 7
	s_cbranch_scc1 .LBB6_1515
; %bb.1511:                             ;   in Loop: Header=BB6_1479 Depth=1
	v_mov_b32_e32 v16, 0
	v_mov_b32_e32 v17, 0
	s_cmp_eq_u32 s15, 0
	s_cbranch_scc1 .LBB6_1514
; %bb.1512:                             ;   in Loop: Header=BB6_1479 Depth=1
	s_mov_b64 s[10:11], 0
	s_mov_b64 s[12:13], 0
.LBB6_1513:                             ;   Parent Loop BB6_1479 Depth=1
                                        ; =>  This Inner Loop Header: Depth=2
	s_delay_alu instid0(SALU_CYCLE_1)
	s_add_u32 vcc_lo, s0, s12
	s_addc_u32 vcc_hi, s1, s13
	s_add_u32 s12, s12, 1
	global_load_u8 v2, v3, vcc
	s_addc_u32 s13, s13, 0
	s_waitcnt vmcnt(0)
	v_and_b32_e32 v2, 0xffff, v2
	s_delay_alu instid0(VALU_DEP_1) | instskip(SKIP_3) | instid1(VALU_DEP_1)
	v_lshlrev_b64 v[18:19], s10, v[2:3]
	s_add_u32 s10, s10, 8
	s_addc_u32 s11, s11, 0
	s_cmp_lg_u32 s15, s12
	v_or_b32_e32 v16, v18, v16
	s_delay_alu instid0(VALU_DEP_2)
	v_or_b32_e32 v17, v19, v17
	s_cbranch_scc1 .LBB6_1513
.LBB6_1514:                             ;   in Loop: Header=BB6_1479 Depth=1
	s_mov_b32 s10, 0
	s_mov_b32 s14, 0
	s_branch .LBB6_1516
.LBB6_1515:                             ;   in Loop: Header=BB6_1479 Depth=1
	s_mov_b32 s10, -1
                                        ; implicit-def: $sgpr14
.LBB6_1516:                             ;   in Loop: Header=BB6_1479 Depth=1
	s_delay_alu instid0(SALU_CYCLE_1)
	s_and_not1_b32 vcc_lo, exec_lo, s10
	s_cbranch_vccnz .LBB6_1518
; %bb.1517:                             ;   in Loop: Header=BB6_1479 Depth=1
	global_load_b64 v[16:17], v3, s[0:1]
	s_add_i32 s14, s15, -8
	s_add_u32 s0, s0, 8
	s_addc_u32 s1, s1, 0
.LBB6_1518:                             ;   in Loop: Header=BB6_1479 Depth=1
	s_cmp_gt_u32 s14, 7
	s_cbranch_scc1 .LBB6_1523
; %bb.1519:                             ;   in Loop: Header=BB6_1479 Depth=1
	v_mov_b32_e32 v18, 0
	v_mov_b32_e32 v19, 0
	s_cmp_eq_u32 s14, 0
	s_cbranch_scc1 .LBB6_1522
; %bb.1520:                             ;   in Loop: Header=BB6_1479 Depth=1
	s_mov_b64 s[10:11], 0
	s_mov_b64 s[12:13], 0
.LBB6_1521:                             ;   Parent Loop BB6_1479 Depth=1
                                        ; =>  This Inner Loop Header: Depth=2
	s_delay_alu instid0(SALU_CYCLE_1)
	s_add_u32 vcc_lo, s0, s12
	s_addc_u32 vcc_hi, s1, s13
	s_add_u32 s12, s12, 1
	global_load_u8 v2, v3, vcc
	s_addc_u32 s13, s13, 0
	s_waitcnt vmcnt(0)
	v_and_b32_e32 v2, 0xffff, v2
	s_delay_alu instid0(VALU_DEP_1) | instskip(SKIP_3) | instid1(VALU_DEP_1)
	v_lshlrev_b64 v[20:21], s10, v[2:3]
	s_add_u32 s10, s10, 8
	s_addc_u32 s11, s11, 0
	s_cmp_lg_u32 s14, s12
	v_or_b32_e32 v18, v20, v18
	s_delay_alu instid0(VALU_DEP_2)
	v_or_b32_e32 v19, v21, v19
	s_cbranch_scc1 .LBB6_1521
.LBB6_1522:                             ;   in Loop: Header=BB6_1479 Depth=1
	s_mov_b32 s10, 0
	s_mov_b32 s15, 0
	s_branch .LBB6_1524
.LBB6_1523:                             ;   in Loop: Header=BB6_1479 Depth=1
	s_mov_b32 s10, -1
                                        ; implicit-def: $vgpr18_vgpr19
                                        ; implicit-def: $sgpr15
.LBB6_1524:                             ;   in Loop: Header=BB6_1479 Depth=1
	s_delay_alu instid0(SALU_CYCLE_1)
	s_and_not1_b32 vcc_lo, exec_lo, s10
	s_cbranch_vccnz .LBB6_1526
; %bb.1525:                             ;   in Loop: Header=BB6_1479 Depth=1
	global_load_b64 v[18:19], v3, s[0:1]
	s_add_i32 s15, s14, -8
	s_add_u32 s0, s0, 8
	s_addc_u32 s1, s1, 0
.LBB6_1526:                             ;   in Loop: Header=BB6_1479 Depth=1
	s_cmp_gt_u32 s15, 7
	s_cbranch_scc1 .LBB6_1531
; %bb.1527:                             ;   in Loop: Header=BB6_1479 Depth=1
	v_mov_b32_e32 v20, 0
	v_mov_b32_e32 v21, 0
	s_cmp_eq_u32 s15, 0
	s_cbranch_scc1 .LBB6_1530
; %bb.1528:                             ;   in Loop: Header=BB6_1479 Depth=1
	s_mov_b64 s[10:11], 0
	s_mov_b64 s[12:13], s[0:1]
.LBB6_1529:                             ;   Parent Loop BB6_1479 Depth=1
                                        ; =>  This Inner Loop Header: Depth=2
	global_load_u8 v2, v3, s[12:13]
	s_add_i32 s15, s15, -1
	s_waitcnt vmcnt(0)
	v_and_b32_e32 v2, 0xffff, v2
	s_delay_alu instid0(VALU_DEP_1)
	v_lshlrev_b64 v[22:23], s10, v[2:3]
	s_add_u32 s10, s10, 8
	s_addc_u32 s11, s11, 0
	s_add_u32 s12, s12, 1
	s_addc_u32 s13, s13, 0
	s_cmp_lg_u32 s15, 0
	v_or_b32_e32 v20, v22, v20
	v_or_b32_e32 v21, v23, v21
	s_cbranch_scc1 .LBB6_1529
.LBB6_1530:                             ;   in Loop: Header=BB6_1479 Depth=1
	s_mov_b32 s10, 0
	s_branch .LBB6_1532
.LBB6_1531:                             ;   in Loop: Header=BB6_1479 Depth=1
	s_mov_b32 s10, -1
.LBB6_1532:                             ;   in Loop: Header=BB6_1479 Depth=1
	s_delay_alu instid0(SALU_CYCLE_1)
	s_and_not1_b32 vcc_lo, exec_lo, s10
	s_cbranch_vccnz .LBB6_1534
; %bb.1533:                             ;   in Loop: Header=BB6_1479 Depth=1
	global_load_b64 v[20:21], v3, s[0:1]
.LBB6_1534:                             ;   in Loop: Header=BB6_1479 Depth=1
	v_readfirstlane_b32 s0, v29
	v_mov_b32_e32 v26, 0
	v_mov_b32_e32 v27, 0
	s_delay_alu instid0(VALU_DEP_3) | instskip(NEXT) | instid1(VALU_DEP_1)
	v_cmp_eq_u32_e64 s0, s0, v29
	s_and_saveexec_b32 s1, s0
	s_cbranch_execz .LBB6_1540
; %bb.1535:                             ;   in Loop: Header=BB6_1479 Depth=1
	global_load_b64 v[24:25], v3, s[2:3] offset:24 glc
	s_waitcnt vmcnt(0)
	buffer_gl1_inv
	buffer_gl0_inv
	s_clause 0x1
	global_load_b64 v[22:23], v3, s[2:3] offset:40
	global_load_b64 v[26:27], v3, s[2:3]
	s_mov_b32 s10, exec_lo
	s_waitcnt vmcnt(1)
	v_and_b32_e32 v2, v23, v25
	v_and_b32_e32 v22, v22, v24
	s_delay_alu instid0(VALU_DEP_2) | instskip(NEXT) | instid1(VALU_DEP_2)
	v_mul_lo_u32 v2, v2, 24
	v_mul_hi_u32 v23, v22, 24
	v_mul_lo_u32 v22, v22, 24
	s_delay_alu instid0(VALU_DEP_2) | instskip(SKIP_1) | instid1(VALU_DEP_2)
	v_add_nc_u32_e32 v2, v23, v2
	s_waitcnt vmcnt(0)
	v_add_co_u32 v22, vcc_lo, v26, v22
	s_delay_alu instid0(VALU_DEP_2)
	v_add_co_ci_u32_e32 v23, vcc_lo, v27, v2, vcc_lo
	global_load_b64 v[22:23], v[22:23], off glc
	s_waitcnt vmcnt(0)
	global_atomic_cmpswap_b64 v[26:27], v3, v[22:25], s[2:3] offset:24 glc
	s_waitcnt vmcnt(0)
	buffer_gl1_inv
	buffer_gl0_inv
	v_cmpx_ne_u64_e64 v[26:27], v[24:25]
	s_cbranch_execz .LBB6_1539
; %bb.1536:                             ;   in Loop: Header=BB6_1479 Depth=1
	s_mov_b32 s11, 0
	.p2align	6
.LBB6_1537:                             ;   Parent Loop BB6_1479 Depth=1
                                        ; =>  This Inner Loop Header: Depth=2
	s_sleep 1
	s_clause 0x1
	global_load_b64 v[22:23], v3, s[2:3] offset:40
	global_load_b64 v[30:31], v3, s[2:3]
	v_dual_mov_b32 v24, v26 :: v_dual_mov_b32 v25, v27
	s_waitcnt vmcnt(1)
	s_delay_alu instid0(VALU_DEP_1) | instskip(SKIP_1) | instid1(VALU_DEP_1)
	v_and_b32_e32 v2, v22, v24
	s_waitcnt vmcnt(0)
	v_mad_u64_u32 v[26:27], null, v2, 24, v[30:31]
	v_and_b32_e32 v30, v23, v25
	s_delay_alu instid0(VALU_DEP_2) | instskip(NEXT) | instid1(VALU_DEP_1)
	v_mov_b32_e32 v2, v27
	v_mad_u64_u32 v[22:23], null, v30, 24, v[2:3]
	s_delay_alu instid0(VALU_DEP_1)
	v_mov_b32_e32 v27, v22
	global_load_b64 v[22:23], v[26:27], off glc
	s_waitcnt vmcnt(0)
	global_atomic_cmpswap_b64 v[26:27], v3, v[22:25], s[2:3] offset:24 glc
	s_waitcnt vmcnt(0)
	buffer_gl1_inv
	buffer_gl0_inv
	v_cmp_eq_u64_e32 vcc_lo, v[26:27], v[24:25]
	s_or_b32 s11, vcc_lo, s11
	s_delay_alu instid0(SALU_CYCLE_1)
	s_and_not1_b32 exec_lo, exec_lo, s11
	s_cbranch_execnz .LBB6_1537
; %bb.1538:                             ;   in Loop: Header=BB6_1479 Depth=1
	s_or_b32 exec_lo, exec_lo, s11
.LBB6_1539:                             ;   in Loop: Header=BB6_1479 Depth=1
	s_delay_alu instid0(SALU_CYCLE_1)
	s_or_b32 exec_lo, exec_lo, s10
.LBB6_1540:                             ;   in Loop: Header=BB6_1479 Depth=1
	s_delay_alu instid0(SALU_CYCLE_1)
	s_or_b32 exec_lo, exec_lo, s1
	s_clause 0x1
	global_load_b64 v[30:31], v3, s[2:3] offset:40
	global_load_b128 v[22:25], v3, s[2:3]
	v_readfirstlane_b32 s10, v26
	v_readfirstlane_b32 s11, v27
	s_mov_b32 s1, exec_lo
	s_waitcnt vmcnt(1)
	v_readfirstlane_b32 s12, v30
	v_readfirstlane_b32 s13, v31
	s_delay_alu instid0(VALU_DEP_1) | instskip(NEXT) | instid1(SALU_CYCLE_1)
	s_and_b64 s[12:13], s[10:11], s[12:13]
	s_mul_i32 s14, s13, 24
	s_mul_hi_u32 s15, s12, 24
	s_mul_i32 s16, s12, 24
	s_add_i32 s15, s15, s14
	s_waitcnt vmcnt(0)
	v_add_co_u32 v26, vcc_lo, v22, s16
	v_add_co_ci_u32_e32 v27, vcc_lo, s15, v23, vcc_lo
	s_and_saveexec_b32 s14, s0
	s_cbranch_execz .LBB6_1542
; %bb.1541:                             ;   in Loop: Header=BB6_1479 Depth=1
	v_mov_b32_e32 v2, s1
	global_store_b128 v[26:27], v[2:5], off offset:8
.LBB6_1542:                             ;   in Loop: Header=BB6_1479 Depth=1
	s_or_b32 exec_lo, exec_lo, s14
	s_lshl_b64 s[12:13], s[12:13], 12
	v_or_b32_e32 v2, 2, v6
	v_add_co_u32 v24, vcc_lo, v24, s12
	v_add_co_ci_u32_e32 v25, vcc_lo, s13, v25, vcc_lo
	v_cmp_gt_u64_e64 vcc_lo, s[6:7], 56
	s_lshl_b32 s1, s8, 2
	s_delay_alu instid0(VALU_DEP_3) | instskip(SKIP_4) | instid1(VALU_DEP_1)
	v_readfirstlane_b32 s12, v24
	s_add_i32 s1, s1, 28
	v_readfirstlane_b32 s13, v25
	s_and_b32 s1, s1, 0x1e0
	v_cndmask_b32_e32 v2, v2, v6, vcc_lo
	v_and_or_b32 v6, 0xffffff1f, v2, s1
	s_clause 0x3
	global_store_b128 v28, v[6:9], s[12:13]
	global_store_b128 v28, v[10:13], s[12:13] offset:16
	global_store_b128 v28, v[14:17], s[12:13] offset:32
	;; [unrolled: 1-line block ×3, first 2 shown]
	s_and_saveexec_b32 s1, s0
	s_cbranch_execz .LBB6_1550
; %bb.1543:                             ;   in Loop: Header=BB6_1479 Depth=1
	s_clause 0x1
	global_load_b64 v[14:15], v3, s[2:3] offset:32 glc
	global_load_b64 v[6:7], v3, s[2:3] offset:40
	v_dual_mov_b32 v12, s10 :: v_dual_mov_b32 v13, s11
	s_waitcnt vmcnt(0)
	v_readfirstlane_b32 s12, v6
	v_readfirstlane_b32 s13, v7
	s_delay_alu instid0(VALU_DEP_1) | instskip(NEXT) | instid1(SALU_CYCLE_1)
	s_and_b64 s[12:13], s[12:13], s[10:11]
	s_mul_i32 s13, s13, 24
	s_mul_hi_u32 s14, s12, 24
	s_mul_i32 s12, s12, 24
	s_add_i32 s14, s14, s13
	v_add_co_u32 v10, vcc_lo, v22, s12
	v_add_co_ci_u32_e32 v11, vcc_lo, s14, v23, vcc_lo
	s_mov_b32 s12, exec_lo
	global_store_b64 v[10:11], v[14:15], off
	s_waitcnt_vscnt null, 0x0
	global_atomic_cmpswap_b64 v[8:9], v3, v[12:15], s[2:3] offset:32 glc
	s_waitcnt vmcnt(0)
	v_cmpx_ne_u64_e64 v[8:9], v[14:15]
	s_cbranch_execz .LBB6_1546
; %bb.1544:                             ;   in Loop: Header=BB6_1479 Depth=1
	s_mov_b32 s13, 0
.LBB6_1545:                             ;   Parent Loop BB6_1479 Depth=1
                                        ; =>  This Inner Loop Header: Depth=2
	v_dual_mov_b32 v6, s10 :: v_dual_mov_b32 v7, s11
	s_sleep 1
	global_store_b64 v[10:11], v[8:9], off
	s_waitcnt_vscnt null, 0x0
	global_atomic_cmpswap_b64 v[6:7], v3, v[6:9], s[2:3] offset:32 glc
	s_waitcnt vmcnt(0)
	v_cmp_eq_u64_e32 vcc_lo, v[6:7], v[8:9]
	v_dual_mov_b32 v9, v7 :: v_dual_mov_b32 v8, v6
	s_or_b32 s13, vcc_lo, s13
	s_delay_alu instid0(SALU_CYCLE_1)
	s_and_not1_b32 exec_lo, exec_lo, s13
	s_cbranch_execnz .LBB6_1545
.LBB6_1546:                             ;   in Loop: Header=BB6_1479 Depth=1
	s_or_b32 exec_lo, exec_lo, s12
	global_load_b64 v[6:7], v3, s[2:3] offset:16
	s_mov_b32 s13, exec_lo
	s_mov_b32 s12, exec_lo
	v_mbcnt_lo_u32_b32 v2, s13, 0
	s_delay_alu instid0(VALU_DEP_1)
	v_cmpx_eq_u32_e32 0, v2
	s_cbranch_execz .LBB6_1548
; %bb.1547:                             ;   in Loop: Header=BB6_1479 Depth=1
	s_bcnt1_i32_b32 s13, s13
	s_delay_alu instid0(SALU_CYCLE_1)
	v_mov_b32_e32 v2, s13
	s_waitcnt vmcnt(0)
	global_atomic_add_u64 v[6:7], v[2:3], off offset:8
.LBB6_1548:                             ;   in Loop: Header=BB6_1479 Depth=1
	s_or_b32 exec_lo, exec_lo, s12
	s_waitcnt vmcnt(0)
	global_load_b64 v[8:9], v[6:7], off offset:16
	s_waitcnt vmcnt(0)
	v_cmp_eq_u64_e32 vcc_lo, 0, v[8:9]
	s_cbranch_vccnz .LBB6_1550
; %bb.1549:                             ;   in Loop: Header=BB6_1479 Depth=1
	global_load_b32 v2, v[6:7], off offset:24
	s_waitcnt vmcnt(0)
	v_and_b32_e32 v6, 0xffffff, v2
	s_waitcnt_vscnt null, 0x0
	global_store_b64 v[8:9], v[2:3], off
	v_readfirstlane_b32 m0, v6
	s_sendmsg sendmsg(MSG_INTERRUPT)
.LBB6_1550:                             ;   in Loop: Header=BB6_1479 Depth=1
	s_or_b32 exec_lo, exec_lo, s1
	v_add_co_u32 v6, vcc_lo, v24, v28
	v_add_co_ci_u32_e32 v7, vcc_lo, 0, v25, vcc_lo
	s_branch .LBB6_1552
	.p2align	6
.LBB6_1551:                             ;   in Loop: Header=BB6_1479 Depth=1
	s_branch .LBB6_1556
.LBB6_1552:                             ;   Parent Loop BB6_1479 Depth=1
                                        ; =>  This Inner Loop Header: Depth=2
	v_mov_b32_e32 v2, 1
	s_and_saveexec_b32 s1, s0
	s_cbranch_execz .LBB6_1554
; %bb.1553:                             ;   in Loop: Header=BB6_1552 Depth=2
	global_load_b32 v2, v[26:27], off offset:20 glc
	s_waitcnt vmcnt(0)
	buffer_gl1_inv
	buffer_gl0_inv
	v_and_b32_e32 v2, 1, v2
.LBB6_1554:                             ;   in Loop: Header=BB6_1552 Depth=2
	s_or_b32 exec_lo, exec_lo, s1
	s_delay_alu instid0(VALU_DEP_1) | instskip(NEXT) | instid1(VALU_DEP_1)
	v_readfirstlane_b32 s1, v2
	s_cmp_eq_u32 s1, 0
	s_cbranch_scc1 .LBB6_1551
; %bb.1555:                             ;   in Loop: Header=BB6_1552 Depth=2
	s_sleep 1
	s_cbranch_execnz .LBB6_1552
.LBB6_1556:                             ;   in Loop: Header=BB6_1479 Depth=1
	global_load_b128 v[6:9], v[6:7], off
	s_and_saveexec_b32 s1, s0
	s_cbranch_execz .LBB6_1478
; %bb.1557:                             ;   in Loop: Header=BB6_1479 Depth=1
	s_clause 0x2
	global_load_b64 v[10:11], v3, s[2:3] offset:40
	global_load_b64 v[14:15], v3, s[2:3] offset:24 glc
	global_load_b64 v[12:13], v3, s[2:3]
	s_waitcnt vmcnt(2)
	v_add_co_u32 v2, vcc_lo, v10, 1
	v_add_co_ci_u32_e32 v16, vcc_lo, 0, v11, vcc_lo
	s_delay_alu instid0(VALU_DEP_2) | instskip(NEXT) | instid1(VALU_DEP_2)
	v_add_co_u32 v8, vcc_lo, v2, s10
	v_add_co_ci_u32_e32 v9, vcc_lo, s11, v16, vcc_lo
	s_delay_alu instid0(VALU_DEP_1) | instskip(SKIP_1) | instid1(VALU_DEP_1)
	v_cmp_eq_u64_e32 vcc_lo, 0, v[8:9]
	v_dual_cndmask_b32 v9, v9, v16 :: v_dual_cndmask_b32 v8, v8, v2
	v_and_b32_e32 v2, v9, v11
	s_delay_alu instid0(VALU_DEP_2) | instskip(NEXT) | instid1(VALU_DEP_2)
	v_and_b32_e32 v10, v8, v10
	v_mul_lo_u32 v2, v2, 24
	s_delay_alu instid0(VALU_DEP_2) | instskip(SKIP_1) | instid1(VALU_DEP_2)
	v_mul_hi_u32 v11, v10, 24
	v_mul_lo_u32 v10, v10, 24
	v_add_nc_u32_e32 v2, v11, v2
	s_waitcnt vmcnt(1)
	v_mov_b32_e32 v11, v15
	s_waitcnt vmcnt(0)
	s_delay_alu instid0(VALU_DEP_3)
	v_add_co_u32 v12, vcc_lo, v12, v10
	v_mov_b32_e32 v10, v14
	v_add_co_ci_u32_e32 v13, vcc_lo, v13, v2, vcc_lo
	global_store_b64 v[12:13], v[14:15], off
	s_waitcnt_vscnt null, 0x0
	global_atomic_cmpswap_b64 v[10:11], v3, v[8:11], s[2:3] offset:24 glc
	s_waitcnt vmcnt(0)
	v_cmp_ne_u64_e32 vcc_lo, v[10:11], v[14:15]
	s_and_b32 exec_lo, exec_lo, vcc_lo
	s_cbranch_execz .LBB6_1478
; %bb.1558:                             ;   in Loop: Header=BB6_1479 Depth=1
	s_mov_b32 s0, 0
.LBB6_1559:                             ;   Parent Loop BB6_1479 Depth=1
                                        ; =>  This Inner Loop Header: Depth=2
	s_sleep 1
	global_store_b64 v[12:13], v[10:11], off
	s_waitcnt_vscnt null, 0x0
	global_atomic_cmpswap_b64 v[14:15], v3, v[8:11], s[2:3] offset:24 glc
	s_waitcnt vmcnt(0)
	v_cmp_eq_u64_e32 vcc_lo, v[14:15], v[10:11]
	v_dual_mov_b32 v10, v14 :: v_dual_mov_b32 v11, v15
	s_or_b32 s0, vcc_lo, s0
	s_delay_alu instid0(SALU_CYCLE_1)
	s_and_not1_b32 exec_lo, exec_lo, s0
	s_cbranch_execnz .LBB6_1559
	s_branch .LBB6_1478
.LBB6_1560:
	s_mov_b32 s0, 0
	s_branch .LBB6_1562
.LBB6_1561:
	s_mov_b32 s0, -1
.LBB6_1562:
	s_delay_alu instid0(SALU_CYCLE_1)
	s_and_b32 vcc_lo, exec_lo, s0
	s_cbranch_vccz .LBB6_1590
; %bb.1563:
	v_readfirstlane_b32 s0, v29
	s_waitcnt vmcnt(0)
	v_mov_b32_e32 v8, 0
	v_mov_b32_e32 v9, 0
	s_delay_alu instid0(VALU_DEP_3) | instskip(NEXT) | instid1(VALU_DEP_1)
	v_cmp_eq_u32_e64 s0, s0, v29
	s_and_saveexec_b32 s1, s0
	s_cbranch_execz .LBB6_1569
; %bb.1564:
	v_mov_b32_e32 v2, 0
	s_mov_b32 s4, exec_lo
	global_load_b64 v[5:6], v2, s[2:3] offset:24 glc
	s_waitcnt vmcnt(0)
	buffer_gl1_inv
	buffer_gl0_inv
	s_clause 0x1
	global_load_b64 v[3:4], v2, s[2:3] offset:40
	global_load_b64 v[7:8], v2, s[2:3]
	s_waitcnt vmcnt(1)
	v_and_b32_e32 v3, v3, v5
	v_and_b32_e32 v4, v4, v6
	s_delay_alu instid0(VALU_DEP_2) | instskip(NEXT) | instid1(VALU_DEP_2)
	v_mul_hi_u32 v9, v3, 24
	v_mul_lo_u32 v4, v4, 24
	v_mul_lo_u32 v3, v3, 24
	s_delay_alu instid0(VALU_DEP_2) | instskip(SKIP_1) | instid1(VALU_DEP_2)
	v_add_nc_u32_e32 v4, v9, v4
	s_waitcnt vmcnt(0)
	v_add_co_u32 v3, vcc_lo, v7, v3
	s_delay_alu instid0(VALU_DEP_2)
	v_add_co_ci_u32_e32 v4, vcc_lo, v8, v4, vcc_lo
	global_load_b64 v[3:4], v[3:4], off glc
	s_waitcnt vmcnt(0)
	global_atomic_cmpswap_b64 v[8:9], v2, v[3:6], s[2:3] offset:24 glc
	s_waitcnt vmcnt(0)
	buffer_gl1_inv
	buffer_gl0_inv
	v_cmpx_ne_u64_e64 v[8:9], v[5:6]
	s_cbranch_execz .LBB6_1568
; %bb.1565:
	s_mov_b32 s5, 0
.LBB6_1566:                             ; =>This Inner Loop Header: Depth=1
	s_sleep 1
	s_clause 0x1
	global_load_b64 v[3:4], v2, s[2:3] offset:40
	global_load_b64 v[10:11], v2, s[2:3]
	v_dual_mov_b32 v5, v8 :: v_dual_mov_b32 v6, v9
	s_waitcnt vmcnt(1)
	s_delay_alu instid0(VALU_DEP_1) | instskip(NEXT) | instid1(VALU_DEP_2)
	v_and_b32_e32 v3, v3, v5
	v_and_b32_e32 v4, v4, v6
	s_waitcnt vmcnt(0)
	s_delay_alu instid0(VALU_DEP_2) | instskip(NEXT) | instid1(VALU_DEP_1)
	v_mad_u64_u32 v[7:8], null, v3, 24, v[10:11]
	v_mov_b32_e32 v3, v8
	s_delay_alu instid0(VALU_DEP_1)
	v_mad_u64_u32 v[8:9], null, v4, 24, v[3:4]
	global_load_b64 v[3:4], v[7:8], off glc
	s_waitcnt vmcnt(0)
	global_atomic_cmpswap_b64 v[8:9], v2, v[3:6], s[2:3] offset:24 glc
	s_waitcnt vmcnt(0)
	buffer_gl1_inv
	buffer_gl0_inv
	v_cmp_eq_u64_e32 vcc_lo, v[8:9], v[5:6]
	s_or_b32 s5, vcc_lo, s5
	s_delay_alu instid0(SALU_CYCLE_1)
	s_and_not1_b32 exec_lo, exec_lo, s5
	s_cbranch_execnz .LBB6_1566
; %bb.1567:
	s_or_b32 exec_lo, exec_lo, s5
.LBB6_1568:
	s_delay_alu instid0(SALU_CYCLE_1)
	s_or_b32 exec_lo, exec_lo, s4
.LBB6_1569:
	s_delay_alu instid0(SALU_CYCLE_1)
	s_or_b32 exec_lo, exec_lo, s1
	v_mov_b32_e32 v2, 0
	v_readfirstlane_b32 s4, v8
	v_readfirstlane_b32 s5, v9
	s_mov_b32 s1, exec_lo
	s_clause 0x1
	global_load_b64 v[10:11], v2, s[2:3] offset:40
	global_load_b128 v[4:7], v2, s[2:3]
	s_waitcnt vmcnt(1)
	v_readfirstlane_b32 s6, v10
	v_readfirstlane_b32 s7, v11
	s_delay_alu instid0(VALU_DEP_1) | instskip(NEXT) | instid1(SALU_CYCLE_1)
	s_and_b64 s[6:7], s[4:5], s[6:7]
	s_mul_i32 s8, s7, 24
	s_mul_hi_u32 s9, s6, 24
	s_mul_i32 s10, s6, 24
	s_add_i32 s9, s9, s8
	s_waitcnt vmcnt(0)
	v_add_co_u32 v8, vcc_lo, v4, s10
	v_add_co_ci_u32_e32 v9, vcc_lo, s9, v5, vcc_lo
	s_and_saveexec_b32 s8, s0
	s_cbranch_execz .LBB6_1571
; %bb.1570:
	v_dual_mov_b32 v10, s1 :: v_dual_mov_b32 v11, v2
	v_dual_mov_b32 v12, 2 :: v_dual_mov_b32 v13, 1
	global_store_b128 v[8:9], v[10:13], off offset:8
.LBB6_1571:
	s_or_b32 exec_lo, exec_lo, s8
	s_lshl_b64 s[6:7], s[6:7], 12
	s_mov_b32 s8, 0
	v_add_co_u32 v6, vcc_lo, v6, s6
	v_add_co_ci_u32_e32 v7, vcc_lo, s7, v7, vcc_lo
	s_mov_b32 s11, s8
	s_mov_b32 s9, s8
	s_mov_b32 s10, s8
	v_and_or_b32 v0, 0xffffff1d, v0, 34
	v_mov_b32_e32 v3, v2
	v_readfirstlane_b32 s6, v6
	v_readfirstlane_b32 s7, v7
	v_dual_mov_b32 v13, s11 :: v_dual_mov_b32 v10, s8
	v_dual_mov_b32 v12, s10 :: v_dual_mov_b32 v11, s9
	s_clause 0x3
	global_store_b128 v28, v[0:3], s[6:7]
	global_store_b128 v28, v[10:13], s[6:7] offset:16
	global_store_b128 v28, v[10:13], s[6:7] offset:32
	;; [unrolled: 1-line block ×3, first 2 shown]
	s_and_saveexec_b32 s1, s0
	s_cbranch_execz .LBB6_1579
; %bb.1572:
	v_dual_mov_b32 v6, 0 :: v_dual_mov_b32 v11, s5
	v_mov_b32_e32 v10, s4
	s_clause 0x1
	global_load_b64 v[12:13], v6, s[2:3] offset:32 glc
	global_load_b64 v[0:1], v6, s[2:3] offset:40
	s_waitcnt vmcnt(0)
	v_readfirstlane_b32 s6, v0
	v_readfirstlane_b32 s7, v1
	s_delay_alu instid0(VALU_DEP_1) | instskip(NEXT) | instid1(SALU_CYCLE_1)
	s_and_b64 s[6:7], s[6:7], s[4:5]
	s_mul_i32 s7, s7, 24
	s_mul_hi_u32 s8, s6, 24
	s_mul_i32 s6, s6, 24
	s_add_i32 s8, s8, s7
	v_add_co_u32 v4, vcc_lo, v4, s6
	v_add_co_ci_u32_e32 v5, vcc_lo, s8, v5, vcc_lo
	s_mov_b32 s6, exec_lo
	global_store_b64 v[4:5], v[12:13], off
	s_waitcnt_vscnt null, 0x0
	global_atomic_cmpswap_b64 v[2:3], v6, v[10:13], s[2:3] offset:32 glc
	s_waitcnt vmcnt(0)
	v_cmpx_ne_u64_e64 v[2:3], v[12:13]
	s_cbranch_execz .LBB6_1575
; %bb.1573:
	s_mov_b32 s7, 0
.LBB6_1574:                             ; =>This Inner Loop Header: Depth=1
	v_dual_mov_b32 v0, s4 :: v_dual_mov_b32 v1, s5
	s_sleep 1
	global_store_b64 v[4:5], v[2:3], off
	s_waitcnt_vscnt null, 0x0
	global_atomic_cmpswap_b64 v[0:1], v6, v[0:3], s[2:3] offset:32 glc
	s_waitcnt vmcnt(0)
	v_cmp_eq_u64_e32 vcc_lo, v[0:1], v[2:3]
	v_dual_mov_b32 v3, v1 :: v_dual_mov_b32 v2, v0
	s_or_b32 s7, vcc_lo, s7
	s_delay_alu instid0(SALU_CYCLE_1)
	s_and_not1_b32 exec_lo, exec_lo, s7
	s_cbranch_execnz .LBB6_1574
.LBB6_1575:
	s_or_b32 exec_lo, exec_lo, s6
	v_mov_b32_e32 v3, 0
	s_mov_b32 s7, exec_lo
	s_mov_b32 s6, exec_lo
	v_mbcnt_lo_u32_b32 v2, s7, 0
	global_load_b64 v[0:1], v3, s[2:3] offset:16
	v_cmpx_eq_u32_e32 0, v2
	s_cbranch_execz .LBB6_1577
; %bb.1576:
	s_bcnt1_i32_b32 s7, s7
	s_delay_alu instid0(SALU_CYCLE_1)
	v_mov_b32_e32 v2, s7
	s_waitcnt vmcnt(0)
	global_atomic_add_u64 v[0:1], v[2:3], off offset:8
.LBB6_1577:
	s_or_b32 exec_lo, exec_lo, s6
	s_waitcnt vmcnt(0)
	global_load_b64 v[2:3], v[0:1], off offset:16
	s_waitcnt vmcnt(0)
	v_cmp_eq_u64_e32 vcc_lo, 0, v[2:3]
	s_cbranch_vccnz .LBB6_1579
; %bb.1578:
	global_load_b32 v0, v[0:1], off offset:24
	s_waitcnt vmcnt(0)
	v_dual_mov_b32 v1, 0 :: v_dual_and_b32 v4, 0xffffff, v0
	s_waitcnt_vscnt null, 0x0
	global_store_b64 v[2:3], v[0:1], off
	v_readfirstlane_b32 m0, v4
	s_sendmsg sendmsg(MSG_INTERRUPT)
.LBB6_1579:
	s_or_b32 exec_lo, exec_lo, s1
	s_branch .LBB6_1581
.LBB6_1580:
	s_branch .LBB6_1585
.LBB6_1581:                             ; =>This Inner Loop Header: Depth=1
	v_mov_b32_e32 v0, 1
	s_and_saveexec_b32 s1, s0
	s_cbranch_execz .LBB6_1583
; %bb.1582:                             ;   in Loop: Header=BB6_1581 Depth=1
	global_load_b32 v0, v[8:9], off offset:20 glc
	s_waitcnt vmcnt(0)
	buffer_gl1_inv
	buffer_gl0_inv
	v_and_b32_e32 v0, 1, v0
.LBB6_1583:                             ;   in Loop: Header=BB6_1581 Depth=1
	s_or_b32 exec_lo, exec_lo, s1
	s_delay_alu instid0(VALU_DEP_1) | instskip(NEXT) | instid1(VALU_DEP_1)
	v_readfirstlane_b32 s1, v0
	s_cmp_eq_u32 s1, 0
	s_cbranch_scc1 .LBB6_1580
; %bb.1584:                             ;   in Loop: Header=BB6_1581 Depth=1
	s_sleep 1
	s_cbranch_execnz .LBB6_1581
.LBB6_1585:
	s_and_saveexec_b32 s1, s0
	s_cbranch_execz .LBB6_1589
; %bb.1586:
	v_mov_b32_e32 v6, 0
	s_clause 0x2
	global_load_b64 v[2:3], v6, s[2:3] offset:40
	global_load_b64 v[7:8], v6, s[2:3] offset:24 glc
	global_load_b64 v[4:5], v6, s[2:3]
	s_waitcnt vmcnt(2)
	v_add_co_u32 v9, vcc_lo, v2, 1
	v_add_co_ci_u32_e32 v10, vcc_lo, 0, v3, vcc_lo
	s_delay_alu instid0(VALU_DEP_2) | instskip(NEXT) | instid1(VALU_DEP_2)
	v_add_co_u32 v0, vcc_lo, v9, s4
	v_add_co_ci_u32_e32 v1, vcc_lo, s5, v10, vcc_lo
	s_delay_alu instid0(VALU_DEP_1) | instskip(SKIP_1) | instid1(VALU_DEP_1)
	v_cmp_eq_u64_e32 vcc_lo, 0, v[0:1]
	v_dual_cndmask_b32 v1, v1, v10 :: v_dual_cndmask_b32 v0, v0, v9
	v_and_b32_e32 v3, v1, v3
	s_delay_alu instid0(VALU_DEP_2) | instskip(NEXT) | instid1(VALU_DEP_2)
	v_and_b32_e32 v2, v0, v2
	v_mul_lo_u32 v3, v3, 24
	s_delay_alu instid0(VALU_DEP_2) | instskip(SKIP_1) | instid1(VALU_DEP_2)
	v_mul_hi_u32 v9, v2, 24
	v_mul_lo_u32 v2, v2, 24
	v_add_nc_u32_e32 v3, v9, v3
	s_waitcnt vmcnt(0)
	s_delay_alu instid0(VALU_DEP_2) | instskip(SKIP_1) | instid1(VALU_DEP_3)
	v_add_co_u32 v4, vcc_lo, v4, v2
	v_mov_b32_e32 v2, v7
	v_add_co_ci_u32_e32 v5, vcc_lo, v5, v3, vcc_lo
	v_mov_b32_e32 v3, v8
	global_store_b64 v[4:5], v[7:8], off
	s_waitcnt_vscnt null, 0x0
	global_atomic_cmpswap_b64 v[2:3], v6, v[0:3], s[2:3] offset:24 glc
	s_waitcnt vmcnt(0)
	v_cmp_ne_u64_e32 vcc_lo, v[2:3], v[7:8]
	s_and_b32 exec_lo, exec_lo, vcc_lo
	s_cbranch_execz .LBB6_1589
; %bb.1587:
	s_mov_b32 s0, 0
.LBB6_1588:                             ; =>This Inner Loop Header: Depth=1
	s_sleep 1
	global_store_b64 v[4:5], v[2:3], off
	s_waitcnt_vscnt null, 0x0
	global_atomic_cmpswap_b64 v[7:8], v6, v[0:3], s[2:3] offset:24 glc
	s_waitcnt vmcnt(0)
	v_cmp_eq_u64_e32 vcc_lo, v[7:8], v[2:3]
	v_dual_mov_b32 v2, v7 :: v_dual_mov_b32 v3, v8
	s_or_b32 s0, vcc_lo, s0
	s_delay_alu instid0(SALU_CYCLE_1)
	s_and_not1_b32 exec_lo, exec_lo, s0
	s_cbranch_execnz .LBB6_1588
.LBB6_1589:
	s_or_b32 exec_lo, exec_lo, s1
.LBB6_1590:
	s_getpc_b64 s[0:1]
	s_add_u32 s0, s0, .str.29@rel32@lo+4
	s_addc_u32 s1, s1, .str.29@rel32@hi+12
	s_getpc_b64 s[2:3]
	s_add_u32 s2, s2, .str.19@rel32@lo+4
	s_addc_u32 s3, s3, .str.19@rel32@hi+12
	s_getpc_b64 s[4:5]
	s_add_u32 s4, s4, __PRETTY_FUNCTION__._ZN7VecsMemIjLi8192EE5fetchEi@rel32@lo+4
	s_addc_u32 s5, s5, __PRETTY_FUNCTION__._ZN7VecsMemIjLi8192EE5fetchEi@rel32@hi+12
	s_waitcnt vmcnt(0)
	v_dual_mov_b32 v0, s0 :: v_dual_mov_b32 v1, s1
	v_dual_mov_b32 v2, s2 :: v_dual_mov_b32 v3, s3
	;; [unrolled: 1-line block ×3, first 2 shown]
	v_mov_b32_e32 v6, s5
	s_mov_b64 s[8:9], s[44:45]
	s_getpc_b64 s[6:7]
	s_add_u32 s6, s6, __assert_fail@rel32@lo+4
	s_addc_u32 s7, s7, __assert_fail@rel32@hi+12
	s_delay_alu instid0(SALU_CYCLE_1)
	s_swappc_b64 s[30:31], s[6:7]
	s_or_b32 s26, s26, exec_lo
                                        ; implicit-def: $vgpr40
.LBB6_1591:
	s_or_b32 exec_lo, exec_lo, s17
	s_delay_alu instid0(SALU_CYCLE_1) | instskip(SKIP_1) | instid1(SALU_CYCLE_1)
	s_and_not1_b32 s0, s20, exec_lo
	s_and_b32 s1, s26, exec_lo
	s_or_b32 s20, s0, s1
.LBB6_1592:
	s_or_b32 exec_lo, exec_lo, s34
	s_delay_alu instid0(SALU_CYCLE_1) | instskip(SKIP_1) | instid1(SALU_CYCLE_1)
	s_and_not1_b32 s0, s19, exec_lo
	s_and_b32 s1, s20, exec_lo
	s_or_b32 s19, s0, s1
.LBB6_1593:
	s_or_b32 exec_lo, exec_lo, s29
	s_and_saveexec_b32 s0, s25
	s_delay_alu instid0(SALU_CYCLE_1)
	s_xor_b32 s17, exec_lo, s0
	s_cbranch_execz .LBB6_1729
; %bb.1594:
	s_load_b64 s[2:3], s[44:45], 0x50
	v_mbcnt_lo_u32_b32 v29, -1, 0
	v_mov_b32_e32 v6, 0
	v_mov_b32_e32 v7, 0
	s_delay_alu instid0(VALU_DEP_3) | instskip(NEXT) | instid1(VALU_DEP_1)
	v_readfirstlane_b32 s0, v29
	v_cmp_eq_u32_e64 s0, s0, v29
	s_delay_alu instid0(VALU_DEP_1)
	s_and_saveexec_b32 s1, s0
	s_cbranch_execz .LBB6_1600
; %bb.1595:
	v_mov_b32_e32 v0, 0
	s_mov_b32 s4, exec_lo
	s_waitcnt lgkmcnt(0)
	global_load_b64 v[3:4], v0, s[2:3] offset:24 glc
	s_waitcnt vmcnt(0)
	buffer_gl1_inv
	buffer_gl0_inv
	s_clause 0x1
	global_load_b64 v[1:2], v0, s[2:3] offset:40
	global_load_b64 v[5:6], v0, s[2:3]
	s_waitcnt vmcnt(1)
	v_and_b32_e32 v1, v1, v3
	v_and_b32_e32 v2, v2, v4
	s_delay_alu instid0(VALU_DEP_2) | instskip(NEXT) | instid1(VALU_DEP_2)
	v_mul_hi_u32 v7, v1, 24
	v_mul_lo_u32 v2, v2, 24
	v_mul_lo_u32 v1, v1, 24
	s_delay_alu instid0(VALU_DEP_2) | instskip(SKIP_1) | instid1(VALU_DEP_2)
	v_add_nc_u32_e32 v2, v7, v2
	s_waitcnt vmcnt(0)
	v_add_co_u32 v1, vcc_lo, v5, v1
	s_delay_alu instid0(VALU_DEP_2)
	v_add_co_ci_u32_e32 v2, vcc_lo, v6, v2, vcc_lo
	global_load_b64 v[1:2], v[1:2], off glc
	s_waitcnt vmcnt(0)
	global_atomic_cmpswap_b64 v[6:7], v0, v[1:4], s[2:3] offset:24 glc
	s_waitcnt vmcnt(0)
	buffer_gl1_inv
	buffer_gl0_inv
	v_cmpx_ne_u64_e64 v[6:7], v[3:4]
	s_cbranch_execz .LBB6_1599
; %bb.1596:
	s_mov_b32 s5, 0
.LBB6_1597:                             ; =>This Inner Loop Header: Depth=1
	s_sleep 1
	s_clause 0x1
	global_load_b64 v[1:2], v0, s[2:3] offset:40
	global_load_b64 v[8:9], v0, s[2:3]
	v_dual_mov_b32 v3, v6 :: v_dual_mov_b32 v4, v7
	s_waitcnt vmcnt(1)
	s_delay_alu instid0(VALU_DEP_1) | instskip(NEXT) | instid1(VALU_DEP_2)
	v_and_b32_e32 v1, v1, v3
	v_and_b32_e32 v2, v2, v4
	s_waitcnt vmcnt(0)
	s_delay_alu instid0(VALU_DEP_2) | instskip(NEXT) | instid1(VALU_DEP_1)
	v_mad_u64_u32 v[5:6], null, v1, 24, v[8:9]
	v_mov_b32_e32 v1, v6
	s_delay_alu instid0(VALU_DEP_1)
	v_mad_u64_u32 v[6:7], null, v2, 24, v[1:2]
	global_load_b64 v[1:2], v[5:6], off glc
	s_waitcnt vmcnt(0)
	global_atomic_cmpswap_b64 v[6:7], v0, v[1:4], s[2:3] offset:24 glc
	s_waitcnt vmcnt(0)
	buffer_gl1_inv
	buffer_gl0_inv
	v_cmp_eq_u64_e32 vcc_lo, v[6:7], v[3:4]
	s_or_b32 s5, vcc_lo, s5
	s_delay_alu instid0(SALU_CYCLE_1)
	s_and_not1_b32 exec_lo, exec_lo, s5
	s_cbranch_execnz .LBB6_1597
; %bb.1598:
	s_or_b32 exec_lo, exec_lo, s5
.LBB6_1599:
	s_delay_alu instid0(SALU_CYCLE_1)
	s_or_b32 exec_lo, exec_lo, s4
.LBB6_1600:
	s_delay_alu instid0(SALU_CYCLE_1)
	s_or_b32 exec_lo, exec_lo, s1
	v_mov_b32_e32 v5, 0
	v_readfirstlane_b32 s4, v6
	v_readfirstlane_b32 s5, v7
	s_mov_b32 s1, exec_lo
	s_waitcnt lgkmcnt(0)
	s_clause 0x1
	global_load_b64 v[8:9], v5, s[2:3] offset:40
	global_load_b128 v[0:3], v5, s[2:3]
	s_waitcnt vmcnt(1)
	v_readfirstlane_b32 s6, v8
	v_readfirstlane_b32 s7, v9
	s_delay_alu instid0(VALU_DEP_1) | instskip(NEXT) | instid1(SALU_CYCLE_1)
	s_and_b64 s[6:7], s[4:5], s[6:7]
	s_mul_i32 s8, s7, 24
	s_mul_hi_u32 s9, s6, 24
	s_mul_i32 s10, s6, 24
	s_add_i32 s9, s9, s8
	s_waitcnt vmcnt(0)
	v_add_co_u32 v8, vcc_lo, v0, s10
	v_add_co_ci_u32_e32 v9, vcc_lo, s9, v1, vcc_lo
	s_and_saveexec_b32 s8, s0
	s_cbranch_execz .LBB6_1602
; %bb.1601:
	v_dual_mov_b32 v4, s1 :: v_dual_mov_b32 v7, 1
	v_mov_b32_e32 v6, 2
	global_store_b128 v[8:9], v[4:7], off offset:8
.LBB6_1602:
	s_or_b32 exec_lo, exec_lo, s8
	s_lshl_b64 s[6:7], s[6:7], 12
	v_dual_mov_b32 v7, v5 :: v_dual_lshlrev_b32 v28, 6, v29
	v_add_co_u32 v2, vcc_lo, v2, s6
	v_add_co_ci_u32_e32 v3, vcc_lo, s7, v3, vcc_lo
	s_mov_b32 s8, 0
	s_delay_alu instid0(VALU_DEP_2)
	v_add_co_u32 v10, vcc_lo, v2, v28
	s_mov_b32 s11, s8
	s_mov_b32 s9, s8
	;; [unrolled: 1-line block ×3, first 2 shown]
	v_dual_mov_b32 v4, 33 :: v_dual_mov_b32 v15, s11
	v_dual_mov_b32 v6, v5 :: v_dual_mov_b32 v13, s9
	v_readfirstlane_b32 s6, v2
	v_readfirstlane_b32 s7, v3
	v_add_co_ci_u32_e32 v11, vcc_lo, 0, v3, vcc_lo
	v_mov_b32_e32 v14, s10
	v_mov_b32_e32 v12, s8
	s_clause 0x3
	global_store_b128 v28, v[4:7], s[6:7]
	global_store_b128 v28, v[12:15], s[6:7] offset:16
	global_store_b128 v28, v[12:15], s[6:7] offset:32
	;; [unrolled: 1-line block ×3, first 2 shown]
	s_and_saveexec_b32 s1, s0
	s_cbranch_execz .LBB6_1610
; %bb.1603:
	v_mov_b32_e32 v6, 0
	s_mov_b32 s6, exec_lo
	s_clause 0x1
	global_load_b64 v[14:15], v6, s[2:3] offset:32 glc
	global_load_b64 v[2:3], v6, s[2:3] offset:40
	v_dual_mov_b32 v13, s5 :: v_dual_mov_b32 v12, s4
	s_waitcnt vmcnt(0)
	v_and_b32_e32 v3, s5, v3
	v_and_b32_e32 v2, s4, v2
	s_delay_alu instid0(VALU_DEP_2) | instskip(NEXT) | instid1(VALU_DEP_2)
	v_mul_lo_u32 v3, v3, 24
	v_mul_hi_u32 v4, v2, 24
	v_mul_lo_u32 v2, v2, 24
	s_delay_alu instid0(VALU_DEP_2) | instskip(NEXT) | instid1(VALU_DEP_2)
	v_add_nc_u32_e32 v3, v4, v3
	v_add_co_u32 v4, vcc_lo, v0, v2
	s_delay_alu instid0(VALU_DEP_2)
	v_add_co_ci_u32_e32 v5, vcc_lo, v1, v3, vcc_lo
	global_store_b64 v[4:5], v[14:15], off
	s_waitcnt_vscnt null, 0x0
	global_atomic_cmpswap_b64 v[2:3], v6, v[12:15], s[2:3] offset:32 glc
	s_waitcnt vmcnt(0)
	v_cmpx_ne_u64_e64 v[2:3], v[14:15]
	s_cbranch_execz .LBB6_1606
; %bb.1604:
	s_mov_b32 s7, 0
.LBB6_1605:                             ; =>This Inner Loop Header: Depth=1
	v_dual_mov_b32 v0, s4 :: v_dual_mov_b32 v1, s5
	s_sleep 1
	global_store_b64 v[4:5], v[2:3], off
	s_waitcnt_vscnt null, 0x0
	global_atomic_cmpswap_b64 v[0:1], v6, v[0:3], s[2:3] offset:32 glc
	s_waitcnt vmcnt(0)
	v_cmp_eq_u64_e32 vcc_lo, v[0:1], v[2:3]
	v_dual_mov_b32 v3, v1 :: v_dual_mov_b32 v2, v0
	s_or_b32 s7, vcc_lo, s7
	s_delay_alu instid0(SALU_CYCLE_1)
	s_and_not1_b32 exec_lo, exec_lo, s7
	s_cbranch_execnz .LBB6_1605
.LBB6_1606:
	s_or_b32 exec_lo, exec_lo, s6
	v_mov_b32_e32 v3, 0
	s_mov_b32 s7, exec_lo
	s_mov_b32 s6, exec_lo
	v_mbcnt_lo_u32_b32 v2, s7, 0
	global_load_b64 v[0:1], v3, s[2:3] offset:16
	v_cmpx_eq_u32_e32 0, v2
	s_cbranch_execz .LBB6_1608
; %bb.1607:
	s_bcnt1_i32_b32 s7, s7
	s_delay_alu instid0(SALU_CYCLE_1)
	v_mov_b32_e32 v2, s7
	s_waitcnt vmcnt(0)
	global_atomic_add_u64 v[0:1], v[2:3], off offset:8
.LBB6_1608:
	s_or_b32 exec_lo, exec_lo, s6
	s_waitcnt vmcnt(0)
	global_load_b64 v[2:3], v[0:1], off offset:16
	s_waitcnt vmcnt(0)
	v_cmp_eq_u64_e32 vcc_lo, 0, v[2:3]
	s_cbranch_vccnz .LBB6_1610
; %bb.1609:
	global_load_b32 v0, v[0:1], off offset:24
	s_waitcnt vmcnt(0)
	v_dual_mov_b32 v1, 0 :: v_dual_and_b32 v4, 0xffffff, v0
	s_waitcnt_vscnt null, 0x0
	global_store_b64 v[2:3], v[0:1], off
	v_readfirstlane_b32 m0, v4
	s_sendmsg sendmsg(MSG_INTERRUPT)
.LBB6_1610:
	s_or_b32 exec_lo, exec_lo, s1
	s_branch .LBB6_1612
.LBB6_1611:
	s_branch .LBB6_1616
.LBB6_1612:                             ; =>This Inner Loop Header: Depth=1
	v_mov_b32_e32 v0, 1
	s_and_saveexec_b32 s1, s0
	s_cbranch_execz .LBB6_1614
; %bb.1613:                             ;   in Loop: Header=BB6_1612 Depth=1
	global_load_b32 v0, v[8:9], off offset:20 glc
	s_waitcnt vmcnt(0)
	buffer_gl1_inv
	buffer_gl0_inv
	v_and_b32_e32 v0, 1, v0
.LBB6_1614:                             ;   in Loop: Header=BB6_1612 Depth=1
	s_or_b32 exec_lo, exec_lo, s1
	s_delay_alu instid0(VALU_DEP_1) | instskip(NEXT) | instid1(VALU_DEP_1)
	v_readfirstlane_b32 s1, v0
	s_cmp_eq_u32 s1, 0
	s_cbranch_scc1 .LBB6_1611
; %bb.1615:                             ;   in Loop: Header=BB6_1612 Depth=1
	s_sleep 1
	s_cbranch_execnz .LBB6_1612
.LBB6_1616:
	global_load_b64 v[0:1], v[10:11], off
	s_and_saveexec_b32 s1, s0
	s_cbranch_execz .LBB6_1620
; %bb.1617:
	v_mov_b32_e32 v8, 0
	s_clause 0x2
	global_load_b64 v[4:5], v8, s[2:3] offset:40
	global_load_b64 v[9:10], v8, s[2:3] offset:24 glc
	global_load_b64 v[6:7], v8, s[2:3]
	s_waitcnt vmcnt(2)
	v_add_co_u32 v11, vcc_lo, v4, 1
	v_add_co_ci_u32_e32 v12, vcc_lo, 0, v5, vcc_lo
	s_delay_alu instid0(VALU_DEP_2) | instskip(NEXT) | instid1(VALU_DEP_2)
	v_add_co_u32 v2, vcc_lo, v11, s4
	v_add_co_ci_u32_e32 v3, vcc_lo, s5, v12, vcc_lo
	s_delay_alu instid0(VALU_DEP_1) | instskip(SKIP_1) | instid1(VALU_DEP_1)
	v_cmp_eq_u64_e32 vcc_lo, 0, v[2:3]
	v_dual_cndmask_b32 v3, v3, v12 :: v_dual_cndmask_b32 v2, v2, v11
	v_and_b32_e32 v5, v3, v5
	s_delay_alu instid0(VALU_DEP_2) | instskip(NEXT) | instid1(VALU_DEP_2)
	v_and_b32_e32 v4, v2, v4
	v_mul_lo_u32 v5, v5, 24
	s_delay_alu instid0(VALU_DEP_2) | instskip(SKIP_1) | instid1(VALU_DEP_2)
	v_mul_hi_u32 v11, v4, 24
	v_mul_lo_u32 v4, v4, 24
	v_add_nc_u32_e32 v5, v11, v5
	s_waitcnt vmcnt(0)
	s_delay_alu instid0(VALU_DEP_2) | instskip(SKIP_1) | instid1(VALU_DEP_3)
	v_add_co_u32 v6, vcc_lo, v6, v4
	v_mov_b32_e32 v4, v9
	v_add_co_ci_u32_e32 v7, vcc_lo, v7, v5, vcc_lo
	v_mov_b32_e32 v5, v10
	global_store_b64 v[6:7], v[9:10], off
	s_waitcnt_vscnt null, 0x0
	global_atomic_cmpswap_b64 v[4:5], v8, v[2:5], s[2:3] offset:24 glc
	s_waitcnt vmcnt(0)
	v_cmp_ne_u64_e32 vcc_lo, v[4:5], v[9:10]
	s_and_b32 exec_lo, exec_lo, vcc_lo
	s_cbranch_execz .LBB6_1620
; %bb.1618:
	s_mov_b32 s0, 0
.LBB6_1619:                             ; =>This Inner Loop Header: Depth=1
	s_sleep 1
	global_store_b64 v[6:7], v[4:5], off
	s_waitcnt_vscnt null, 0x0
	global_atomic_cmpswap_b64 v[9:10], v8, v[2:5], s[2:3] offset:24 glc
	s_waitcnt vmcnt(0)
	v_cmp_eq_u64_e32 vcc_lo, v[9:10], v[4:5]
	v_dual_mov_b32 v4, v9 :: v_dual_mov_b32 v5, v10
	s_or_b32 s0, vcc_lo, s0
	s_delay_alu instid0(SALU_CYCLE_1)
	s_and_not1_b32 exec_lo, exec_lo, s0
	s_cbranch_execnz .LBB6_1619
.LBB6_1620:
	s_or_b32 exec_lo, exec_lo, s1
	s_getpc_b64 s[4:5]
	s_add_u32 s4, s4, .str.28@rel32@lo+4
	s_addc_u32 s5, s5, .str.28@rel32@hi+12
	s_delay_alu instid0(SALU_CYCLE_1)
	s_cmp_lg_u64 s[4:5], 0
	s_cbranch_scc0 .LBB6_1699
; %bb.1621:
	s_waitcnt vmcnt(0)
	v_dual_mov_b32 v7, v1 :: v_dual_and_b32 v6, -3, v0
	v_dual_mov_b32 v3, 0 :: v_dual_mov_b32 v4, 2
	v_mov_b32_e32 v5, 1
	s_mov_b64 s[6:7], 35
	s_branch .LBB6_1623
.LBB6_1622:                             ;   in Loop: Header=BB6_1623 Depth=1
	s_or_b32 exec_lo, exec_lo, s1
	s_sub_u32 s6, s6, s8
	s_subb_u32 s7, s7, s9
	s_add_u32 s4, s4, s8
	s_addc_u32 s5, s5, s9
	s_cmp_lg_u64 s[6:7], 0
	s_cbranch_scc0 .LBB6_1698
.LBB6_1623:                             ; =>This Loop Header: Depth=1
                                        ;     Child Loop BB6_1626 Depth 2
                                        ;     Child Loop BB6_1631 Depth 2
                                        ;     Child Loop BB6_1640 Depth 2
                                        ;     Child Loop BB6_1647 Depth 2
                                        ;     Child Loop BB6_1654 Depth 2
                                        ;     Child Loop BB6_1661 Depth 2
                                        ;     Child Loop BB6_1668 Depth 2
                                        ;     Child Loop BB6_1675 Depth 2
                                        ;     Child Loop BB6_1683 Depth 2
                                        ;     Child Loop BB6_1690 Depth 2
                                        ;     Child Loop BB6_1697 Depth 2
	v_cmp_lt_u64_e64 s0, s[6:7], 56
	v_cmp_gt_u64_e64 s1, s[6:7], 7
                                        ; implicit-def: $sgpr14
	s_delay_alu instid0(VALU_DEP_2) | instskip(SKIP_2) | instid1(VALU_DEP_1)
	s_and_b32 s0, s0, exec_lo
	s_cselect_b32 s9, s7, 0
	s_cselect_b32 s8, s6, 56
	s_and_b32 vcc_lo, exec_lo, s1
	s_mov_b32 s0, -1
	s_cbranch_vccnz .LBB6_1633
; %bb.1624:                             ;   in Loop: Header=BB6_1623 Depth=1
	s_waitcnt vmcnt(0)
	v_mov_b32_e32 v8, 0
	v_mov_b32_e32 v9, 0
	s_cmp_eq_u64 s[6:7], 0
	s_mov_b64 s[0:1], 0
	s_cbranch_scc1 .LBB6_1627
; %bb.1625:                             ;   in Loop: Header=BB6_1623 Depth=1
	v_mov_b32_e32 v8, 0
	v_mov_b32_e32 v9, 0
	s_lshl_b64 s[10:11], s[8:9], 3
	s_mov_b64 s[12:13], s[4:5]
.LBB6_1626:                             ;   Parent Loop BB6_1623 Depth=1
                                        ; =>  This Inner Loop Header: Depth=2
	global_load_u8 v2, v3, s[12:13]
	s_waitcnt vmcnt(0)
	v_and_b32_e32 v2, 0xffff, v2
	s_delay_alu instid0(VALU_DEP_1)
	v_lshlrev_b64 v[10:11], s0, v[2:3]
	s_add_u32 s0, s0, 8
	s_addc_u32 s1, s1, 0
	s_add_u32 s12, s12, 1
	s_addc_u32 s13, s13, 0
	s_cmp_lg_u32 s10, s0
	v_or_b32_e32 v8, v10, v8
	v_or_b32_e32 v9, v11, v9
	s_cbranch_scc1 .LBB6_1626
.LBB6_1627:                             ;   in Loop: Header=BB6_1623 Depth=1
	s_mov_b32 s14, 0
	s_mov_b64 s[0:1], s[4:5]
	s_cbranch_execz .LBB6_1634
.LBB6_1628:                             ;   in Loop: Header=BB6_1623 Depth=1
	s_cmp_gt_u32 s14, 7
	s_cbranch_scc1 .LBB6_1635
.LBB6_1629:                             ;   in Loop: Header=BB6_1623 Depth=1
	v_mov_b32_e32 v10, 0
	v_mov_b32_e32 v11, 0
	s_cmp_eq_u32 s14, 0
	s_cbranch_scc1 .LBB6_1632
; %bb.1630:                             ;   in Loop: Header=BB6_1623 Depth=1
	s_mov_b64 s[10:11], 0
	s_mov_b64 s[12:13], 0
.LBB6_1631:                             ;   Parent Loop BB6_1623 Depth=1
                                        ; =>  This Inner Loop Header: Depth=2
	s_delay_alu instid0(SALU_CYCLE_1)
	s_add_u32 s26, s0, s12
	s_addc_u32 s27, s1, s13
	s_add_u32 s12, s12, 1
	global_load_u8 v2, v3, s[26:27]
	s_addc_u32 s13, s13, 0
	s_waitcnt vmcnt(0)
	v_and_b32_e32 v2, 0xffff, v2
	s_delay_alu instid0(VALU_DEP_1) | instskip(SKIP_3) | instid1(VALU_DEP_1)
	v_lshlrev_b64 v[12:13], s10, v[2:3]
	s_add_u32 s10, s10, 8
	s_addc_u32 s11, s11, 0
	s_cmp_lg_u32 s14, s12
	v_or_b32_e32 v10, v12, v10
	s_delay_alu instid0(VALU_DEP_2)
	v_or_b32_e32 v11, v13, v11
	s_cbranch_scc1 .LBB6_1631
.LBB6_1632:                             ;   in Loop: Header=BB6_1623 Depth=1
	s_mov_b32 s15, 0
	s_cbranch_execz .LBB6_1636
	s_branch .LBB6_1637
.LBB6_1633:                             ;   in Loop: Header=BB6_1623 Depth=1
	s_and_not1_b32 vcc_lo, exec_lo, s0
	s_mov_b64 s[0:1], s[4:5]
	s_cbranch_vccnz .LBB6_1628
.LBB6_1634:                             ;   in Loop: Header=BB6_1623 Depth=1
	global_load_b64 v[8:9], v3, s[4:5]
	s_add_i32 s14, s8, -8
	s_add_u32 s0, s4, 8
	s_addc_u32 s1, s5, 0
	s_cmp_gt_u32 s14, 7
	s_cbranch_scc0 .LBB6_1629
.LBB6_1635:                             ;   in Loop: Header=BB6_1623 Depth=1
                                        ; implicit-def: $vgpr10_vgpr11
                                        ; implicit-def: $sgpr15
.LBB6_1636:                             ;   in Loop: Header=BB6_1623 Depth=1
	global_load_b64 v[10:11], v3, s[0:1]
	s_add_i32 s15, s14, -8
	s_add_u32 s0, s0, 8
	s_addc_u32 s1, s1, 0
.LBB6_1637:                             ;   in Loop: Header=BB6_1623 Depth=1
	s_cmp_gt_u32 s15, 7
	s_cbranch_scc1 .LBB6_1642
; %bb.1638:                             ;   in Loop: Header=BB6_1623 Depth=1
	v_mov_b32_e32 v12, 0
	v_mov_b32_e32 v13, 0
	s_cmp_eq_u32 s15, 0
	s_cbranch_scc1 .LBB6_1641
; %bb.1639:                             ;   in Loop: Header=BB6_1623 Depth=1
	s_mov_b64 s[10:11], 0
	s_mov_b64 s[12:13], 0
.LBB6_1640:                             ;   Parent Loop BB6_1623 Depth=1
                                        ; =>  This Inner Loop Header: Depth=2
	s_delay_alu instid0(SALU_CYCLE_1)
	s_add_u32 s26, s0, s12
	s_addc_u32 s27, s1, s13
	s_add_u32 s12, s12, 1
	global_load_u8 v2, v3, s[26:27]
	s_addc_u32 s13, s13, 0
	s_waitcnt vmcnt(0)
	v_and_b32_e32 v2, 0xffff, v2
	s_delay_alu instid0(VALU_DEP_1) | instskip(SKIP_3) | instid1(VALU_DEP_1)
	v_lshlrev_b64 v[14:15], s10, v[2:3]
	s_add_u32 s10, s10, 8
	s_addc_u32 s11, s11, 0
	s_cmp_lg_u32 s15, s12
	v_or_b32_e32 v12, v14, v12
	s_delay_alu instid0(VALU_DEP_2)
	v_or_b32_e32 v13, v15, v13
	s_cbranch_scc1 .LBB6_1640
.LBB6_1641:                             ;   in Loop: Header=BB6_1623 Depth=1
	s_mov_b32 s14, 0
	s_cbranch_execz .LBB6_1643
	s_branch .LBB6_1644
.LBB6_1642:                             ;   in Loop: Header=BB6_1623 Depth=1
                                        ; implicit-def: $sgpr14
.LBB6_1643:                             ;   in Loop: Header=BB6_1623 Depth=1
	global_load_b64 v[12:13], v3, s[0:1]
	s_add_i32 s14, s15, -8
	s_add_u32 s0, s0, 8
	s_addc_u32 s1, s1, 0
.LBB6_1644:                             ;   in Loop: Header=BB6_1623 Depth=1
	s_cmp_gt_u32 s14, 7
	s_cbranch_scc1 .LBB6_1649
; %bb.1645:                             ;   in Loop: Header=BB6_1623 Depth=1
	v_mov_b32_e32 v14, 0
	v_mov_b32_e32 v15, 0
	s_cmp_eq_u32 s14, 0
	s_cbranch_scc1 .LBB6_1648
; %bb.1646:                             ;   in Loop: Header=BB6_1623 Depth=1
	s_mov_b64 s[10:11], 0
	s_mov_b64 s[12:13], 0
.LBB6_1647:                             ;   Parent Loop BB6_1623 Depth=1
                                        ; =>  This Inner Loop Header: Depth=2
	s_delay_alu instid0(SALU_CYCLE_1)
	s_add_u32 s26, s0, s12
	s_addc_u32 s27, s1, s13
	s_add_u32 s12, s12, 1
	global_load_u8 v2, v3, s[26:27]
	s_addc_u32 s13, s13, 0
	s_waitcnt vmcnt(0)
	v_and_b32_e32 v2, 0xffff, v2
	s_delay_alu instid0(VALU_DEP_1) | instskip(SKIP_3) | instid1(VALU_DEP_1)
	v_lshlrev_b64 v[16:17], s10, v[2:3]
	s_add_u32 s10, s10, 8
	s_addc_u32 s11, s11, 0
	s_cmp_lg_u32 s14, s12
	v_or_b32_e32 v14, v16, v14
	s_delay_alu instid0(VALU_DEP_2)
	v_or_b32_e32 v15, v17, v15
	s_cbranch_scc1 .LBB6_1647
.LBB6_1648:                             ;   in Loop: Header=BB6_1623 Depth=1
	s_mov_b32 s15, 0
	s_cbranch_execz .LBB6_1650
	s_branch .LBB6_1651
.LBB6_1649:                             ;   in Loop: Header=BB6_1623 Depth=1
                                        ; implicit-def: $vgpr14_vgpr15
                                        ; implicit-def: $sgpr15
.LBB6_1650:                             ;   in Loop: Header=BB6_1623 Depth=1
	global_load_b64 v[14:15], v3, s[0:1]
	s_add_i32 s15, s14, -8
	s_add_u32 s0, s0, 8
	s_addc_u32 s1, s1, 0
.LBB6_1651:                             ;   in Loop: Header=BB6_1623 Depth=1
	s_cmp_gt_u32 s15, 7
	s_cbranch_scc1 .LBB6_1656
; %bb.1652:                             ;   in Loop: Header=BB6_1623 Depth=1
	v_mov_b32_e32 v16, 0
	v_mov_b32_e32 v17, 0
	s_cmp_eq_u32 s15, 0
	s_cbranch_scc1 .LBB6_1655
; %bb.1653:                             ;   in Loop: Header=BB6_1623 Depth=1
	s_mov_b64 s[10:11], 0
	s_mov_b64 s[12:13], 0
.LBB6_1654:                             ;   Parent Loop BB6_1623 Depth=1
                                        ; =>  This Inner Loop Header: Depth=2
	s_delay_alu instid0(SALU_CYCLE_1)
	s_add_u32 s26, s0, s12
	s_addc_u32 s27, s1, s13
	s_add_u32 s12, s12, 1
	global_load_u8 v2, v3, s[26:27]
	s_addc_u32 s13, s13, 0
	s_waitcnt vmcnt(0)
	v_and_b32_e32 v2, 0xffff, v2
	s_delay_alu instid0(VALU_DEP_1) | instskip(SKIP_3) | instid1(VALU_DEP_1)
	v_lshlrev_b64 v[18:19], s10, v[2:3]
	s_add_u32 s10, s10, 8
	s_addc_u32 s11, s11, 0
	s_cmp_lg_u32 s15, s12
	v_or_b32_e32 v16, v18, v16
	s_delay_alu instid0(VALU_DEP_2)
	v_or_b32_e32 v17, v19, v17
	s_cbranch_scc1 .LBB6_1654
.LBB6_1655:                             ;   in Loop: Header=BB6_1623 Depth=1
	s_mov_b32 s14, 0
	s_cbranch_execz .LBB6_1657
	s_branch .LBB6_1658
.LBB6_1656:                             ;   in Loop: Header=BB6_1623 Depth=1
                                        ; implicit-def: $sgpr14
.LBB6_1657:                             ;   in Loop: Header=BB6_1623 Depth=1
	global_load_b64 v[16:17], v3, s[0:1]
	s_add_i32 s14, s15, -8
	s_add_u32 s0, s0, 8
	s_addc_u32 s1, s1, 0
.LBB6_1658:                             ;   in Loop: Header=BB6_1623 Depth=1
	s_cmp_gt_u32 s14, 7
	s_cbranch_scc1 .LBB6_1663
; %bb.1659:                             ;   in Loop: Header=BB6_1623 Depth=1
	v_mov_b32_e32 v18, 0
	v_mov_b32_e32 v19, 0
	s_cmp_eq_u32 s14, 0
	s_cbranch_scc1 .LBB6_1662
; %bb.1660:                             ;   in Loop: Header=BB6_1623 Depth=1
	s_mov_b64 s[10:11], 0
	s_mov_b64 s[12:13], 0
.LBB6_1661:                             ;   Parent Loop BB6_1623 Depth=1
                                        ; =>  This Inner Loop Header: Depth=2
	s_delay_alu instid0(SALU_CYCLE_1)
	s_add_u32 s26, s0, s12
	s_addc_u32 s27, s1, s13
	s_add_u32 s12, s12, 1
	global_load_u8 v2, v3, s[26:27]
	s_addc_u32 s13, s13, 0
	s_waitcnt vmcnt(0)
	v_and_b32_e32 v2, 0xffff, v2
	s_delay_alu instid0(VALU_DEP_1) | instskip(SKIP_3) | instid1(VALU_DEP_1)
	v_lshlrev_b64 v[20:21], s10, v[2:3]
	s_add_u32 s10, s10, 8
	s_addc_u32 s11, s11, 0
	s_cmp_lg_u32 s14, s12
	v_or_b32_e32 v18, v20, v18
	s_delay_alu instid0(VALU_DEP_2)
	v_or_b32_e32 v19, v21, v19
	s_cbranch_scc1 .LBB6_1661
.LBB6_1662:                             ;   in Loop: Header=BB6_1623 Depth=1
	s_mov_b32 s15, 0
	s_cbranch_execz .LBB6_1664
	s_branch .LBB6_1665
.LBB6_1663:                             ;   in Loop: Header=BB6_1623 Depth=1
                                        ; implicit-def: $vgpr18_vgpr19
                                        ; implicit-def: $sgpr15
.LBB6_1664:                             ;   in Loop: Header=BB6_1623 Depth=1
	global_load_b64 v[18:19], v3, s[0:1]
	s_add_i32 s15, s14, -8
	s_add_u32 s0, s0, 8
	s_addc_u32 s1, s1, 0
.LBB6_1665:                             ;   in Loop: Header=BB6_1623 Depth=1
	s_cmp_gt_u32 s15, 7
	s_cbranch_scc1 .LBB6_1670
; %bb.1666:                             ;   in Loop: Header=BB6_1623 Depth=1
	v_mov_b32_e32 v20, 0
	v_mov_b32_e32 v21, 0
	s_cmp_eq_u32 s15, 0
	s_cbranch_scc1 .LBB6_1669
; %bb.1667:                             ;   in Loop: Header=BB6_1623 Depth=1
	s_mov_b64 s[10:11], 0
	s_mov_b64 s[12:13], s[0:1]
.LBB6_1668:                             ;   Parent Loop BB6_1623 Depth=1
                                        ; =>  This Inner Loop Header: Depth=2
	global_load_u8 v2, v3, s[12:13]
	s_add_i32 s15, s15, -1
	s_waitcnt vmcnt(0)
	v_and_b32_e32 v2, 0xffff, v2
	s_delay_alu instid0(VALU_DEP_1)
	v_lshlrev_b64 v[22:23], s10, v[2:3]
	s_add_u32 s10, s10, 8
	s_addc_u32 s11, s11, 0
	s_add_u32 s12, s12, 1
	s_addc_u32 s13, s13, 0
	s_cmp_lg_u32 s15, 0
	v_or_b32_e32 v20, v22, v20
	v_or_b32_e32 v21, v23, v21
	s_cbranch_scc1 .LBB6_1668
.LBB6_1669:                             ;   in Loop: Header=BB6_1623 Depth=1
	s_cbranch_execz .LBB6_1671
	s_branch .LBB6_1672
.LBB6_1670:                             ;   in Loop: Header=BB6_1623 Depth=1
.LBB6_1671:                             ;   in Loop: Header=BB6_1623 Depth=1
	global_load_b64 v[20:21], v3, s[0:1]
.LBB6_1672:                             ;   in Loop: Header=BB6_1623 Depth=1
	v_readfirstlane_b32 s0, v29
	v_mov_b32_e32 v26, 0
	v_mov_b32_e32 v27, 0
	s_delay_alu instid0(VALU_DEP_3) | instskip(NEXT) | instid1(VALU_DEP_1)
	v_cmp_eq_u32_e64 s0, s0, v29
	s_and_saveexec_b32 s1, s0
	s_cbranch_execz .LBB6_1678
; %bb.1673:                             ;   in Loop: Header=BB6_1623 Depth=1
	global_load_b64 v[24:25], v3, s[2:3] offset:24 glc
	s_waitcnt vmcnt(0)
	buffer_gl1_inv
	buffer_gl0_inv
	s_clause 0x1
	global_load_b64 v[22:23], v3, s[2:3] offset:40
	global_load_b64 v[26:27], v3, s[2:3]
	s_mov_b32 s10, exec_lo
	s_waitcnt vmcnt(1)
	v_and_b32_e32 v2, v23, v25
	v_and_b32_e32 v22, v22, v24
	s_delay_alu instid0(VALU_DEP_2) | instskip(NEXT) | instid1(VALU_DEP_2)
	v_mul_lo_u32 v2, v2, 24
	v_mul_hi_u32 v23, v22, 24
	v_mul_lo_u32 v22, v22, 24
	s_delay_alu instid0(VALU_DEP_2) | instskip(SKIP_1) | instid1(VALU_DEP_2)
	v_add_nc_u32_e32 v2, v23, v2
	s_waitcnt vmcnt(0)
	v_add_co_u32 v22, vcc_lo, v26, v22
	s_delay_alu instid0(VALU_DEP_2)
	v_add_co_ci_u32_e32 v23, vcc_lo, v27, v2, vcc_lo
	global_load_b64 v[22:23], v[22:23], off glc
	s_waitcnt vmcnt(0)
	global_atomic_cmpswap_b64 v[26:27], v3, v[22:25], s[2:3] offset:24 glc
	s_waitcnt vmcnt(0)
	buffer_gl1_inv
	buffer_gl0_inv
	v_cmpx_ne_u64_e64 v[26:27], v[24:25]
	s_cbranch_execz .LBB6_1677
; %bb.1674:                             ;   in Loop: Header=BB6_1623 Depth=1
	s_mov_b32 s11, 0
	.p2align	6
.LBB6_1675:                             ;   Parent Loop BB6_1623 Depth=1
                                        ; =>  This Inner Loop Header: Depth=2
	s_sleep 1
	s_clause 0x1
	global_load_b64 v[22:23], v3, s[2:3] offset:40
	global_load_b64 v[30:31], v3, s[2:3]
	v_dual_mov_b32 v24, v26 :: v_dual_mov_b32 v25, v27
	s_waitcnt vmcnt(1)
	s_delay_alu instid0(VALU_DEP_1) | instskip(SKIP_1) | instid1(VALU_DEP_1)
	v_and_b32_e32 v2, v22, v24
	s_waitcnt vmcnt(0)
	v_mad_u64_u32 v[26:27], null, v2, 24, v[30:31]
	v_and_b32_e32 v30, v23, v25
	s_delay_alu instid0(VALU_DEP_2) | instskip(NEXT) | instid1(VALU_DEP_1)
	v_mov_b32_e32 v2, v27
	v_mad_u64_u32 v[22:23], null, v30, 24, v[2:3]
	s_delay_alu instid0(VALU_DEP_1)
	v_mov_b32_e32 v27, v22
	global_load_b64 v[22:23], v[26:27], off glc
	s_waitcnt vmcnt(0)
	global_atomic_cmpswap_b64 v[26:27], v3, v[22:25], s[2:3] offset:24 glc
	s_waitcnt vmcnt(0)
	buffer_gl1_inv
	buffer_gl0_inv
	v_cmp_eq_u64_e32 vcc_lo, v[26:27], v[24:25]
	s_or_b32 s11, vcc_lo, s11
	s_delay_alu instid0(SALU_CYCLE_1)
	s_and_not1_b32 exec_lo, exec_lo, s11
	s_cbranch_execnz .LBB6_1675
; %bb.1676:                             ;   in Loop: Header=BB6_1623 Depth=1
	s_or_b32 exec_lo, exec_lo, s11
.LBB6_1677:                             ;   in Loop: Header=BB6_1623 Depth=1
	s_delay_alu instid0(SALU_CYCLE_1)
	s_or_b32 exec_lo, exec_lo, s10
.LBB6_1678:                             ;   in Loop: Header=BB6_1623 Depth=1
	s_delay_alu instid0(SALU_CYCLE_1)
	s_or_b32 exec_lo, exec_lo, s1
	s_clause 0x1
	global_load_b64 v[30:31], v3, s[2:3] offset:40
	global_load_b128 v[22:25], v3, s[2:3]
	v_readfirstlane_b32 s10, v26
	v_readfirstlane_b32 s11, v27
	s_mov_b32 s1, exec_lo
	s_waitcnt vmcnt(1)
	v_readfirstlane_b32 s12, v30
	v_readfirstlane_b32 s13, v31
	s_delay_alu instid0(VALU_DEP_1) | instskip(NEXT) | instid1(SALU_CYCLE_1)
	s_and_b64 s[12:13], s[10:11], s[12:13]
	s_mul_i32 s14, s13, 24
	s_mul_hi_u32 s15, s12, 24
	s_mul_i32 s16, s12, 24
	s_add_i32 s15, s15, s14
	s_waitcnt vmcnt(0)
	v_add_co_u32 v26, vcc_lo, v22, s16
	v_add_co_ci_u32_e32 v27, vcc_lo, s15, v23, vcc_lo
	s_and_saveexec_b32 s14, s0
	s_cbranch_execz .LBB6_1680
; %bb.1679:                             ;   in Loop: Header=BB6_1623 Depth=1
	v_mov_b32_e32 v2, s1
	global_store_b128 v[26:27], v[2:5], off offset:8
.LBB6_1680:                             ;   in Loop: Header=BB6_1623 Depth=1
	s_or_b32 exec_lo, exec_lo, s14
	s_lshl_b64 s[12:13], s[12:13], 12
	v_or_b32_e32 v2, 2, v6
	v_add_co_u32 v24, vcc_lo, v24, s12
	v_add_co_ci_u32_e32 v25, vcc_lo, s13, v25, vcc_lo
	v_cmp_gt_u64_e64 vcc_lo, s[6:7], 56
	s_lshl_b32 s1, s8, 2
	s_delay_alu instid0(VALU_DEP_3) | instskip(SKIP_4) | instid1(VALU_DEP_1)
	v_readfirstlane_b32 s12, v24
	s_add_i32 s1, s1, 28
	v_readfirstlane_b32 s13, v25
	s_and_b32 s1, s1, 0x1e0
	v_cndmask_b32_e32 v2, v2, v6, vcc_lo
	v_and_or_b32 v6, 0xffffff1f, v2, s1
	s_clause 0x3
	global_store_b128 v28, v[6:9], s[12:13]
	global_store_b128 v28, v[10:13], s[12:13] offset:16
	global_store_b128 v28, v[14:17], s[12:13] offset:32
	global_store_b128 v28, v[18:21], s[12:13] offset:48
	s_and_saveexec_b32 s1, s0
	s_cbranch_execz .LBB6_1688
; %bb.1681:                             ;   in Loop: Header=BB6_1623 Depth=1
	s_clause 0x1
	global_load_b64 v[14:15], v3, s[2:3] offset:32 glc
	global_load_b64 v[6:7], v3, s[2:3] offset:40
	v_dual_mov_b32 v12, s10 :: v_dual_mov_b32 v13, s11
	s_waitcnt vmcnt(0)
	v_readfirstlane_b32 s12, v6
	v_readfirstlane_b32 s13, v7
	s_delay_alu instid0(VALU_DEP_1) | instskip(NEXT) | instid1(SALU_CYCLE_1)
	s_and_b64 s[12:13], s[12:13], s[10:11]
	s_mul_i32 s13, s13, 24
	s_mul_hi_u32 s14, s12, 24
	s_mul_i32 s12, s12, 24
	s_add_i32 s14, s14, s13
	v_add_co_u32 v10, vcc_lo, v22, s12
	v_add_co_ci_u32_e32 v11, vcc_lo, s14, v23, vcc_lo
	s_mov_b32 s12, exec_lo
	global_store_b64 v[10:11], v[14:15], off
	s_waitcnt_vscnt null, 0x0
	global_atomic_cmpswap_b64 v[8:9], v3, v[12:15], s[2:3] offset:32 glc
	s_waitcnt vmcnt(0)
	v_cmpx_ne_u64_e64 v[8:9], v[14:15]
	s_cbranch_execz .LBB6_1684
; %bb.1682:                             ;   in Loop: Header=BB6_1623 Depth=1
	s_mov_b32 s13, 0
.LBB6_1683:                             ;   Parent Loop BB6_1623 Depth=1
                                        ; =>  This Inner Loop Header: Depth=2
	v_dual_mov_b32 v6, s10 :: v_dual_mov_b32 v7, s11
	s_sleep 1
	global_store_b64 v[10:11], v[8:9], off
	s_waitcnt_vscnt null, 0x0
	global_atomic_cmpswap_b64 v[6:7], v3, v[6:9], s[2:3] offset:32 glc
	s_waitcnt vmcnt(0)
	v_cmp_eq_u64_e32 vcc_lo, v[6:7], v[8:9]
	v_dual_mov_b32 v9, v7 :: v_dual_mov_b32 v8, v6
	s_or_b32 s13, vcc_lo, s13
	s_delay_alu instid0(SALU_CYCLE_1)
	s_and_not1_b32 exec_lo, exec_lo, s13
	s_cbranch_execnz .LBB6_1683
.LBB6_1684:                             ;   in Loop: Header=BB6_1623 Depth=1
	s_or_b32 exec_lo, exec_lo, s12
	global_load_b64 v[6:7], v3, s[2:3] offset:16
	s_mov_b32 s13, exec_lo
	s_mov_b32 s12, exec_lo
	v_mbcnt_lo_u32_b32 v2, s13, 0
	s_delay_alu instid0(VALU_DEP_1)
	v_cmpx_eq_u32_e32 0, v2
	s_cbranch_execz .LBB6_1686
; %bb.1685:                             ;   in Loop: Header=BB6_1623 Depth=1
	s_bcnt1_i32_b32 s13, s13
	s_delay_alu instid0(SALU_CYCLE_1)
	v_mov_b32_e32 v2, s13
	s_waitcnt vmcnt(0)
	global_atomic_add_u64 v[6:7], v[2:3], off offset:8
.LBB6_1686:                             ;   in Loop: Header=BB6_1623 Depth=1
	s_or_b32 exec_lo, exec_lo, s12
	s_waitcnt vmcnt(0)
	global_load_b64 v[8:9], v[6:7], off offset:16
	s_waitcnt vmcnt(0)
	v_cmp_eq_u64_e32 vcc_lo, 0, v[8:9]
	s_cbranch_vccnz .LBB6_1688
; %bb.1687:                             ;   in Loop: Header=BB6_1623 Depth=1
	global_load_b32 v2, v[6:7], off offset:24
	s_waitcnt vmcnt(0)
	v_and_b32_e32 v6, 0xffffff, v2
	s_waitcnt_vscnt null, 0x0
	global_store_b64 v[8:9], v[2:3], off
	v_readfirstlane_b32 m0, v6
	s_sendmsg sendmsg(MSG_INTERRUPT)
.LBB6_1688:                             ;   in Loop: Header=BB6_1623 Depth=1
	s_or_b32 exec_lo, exec_lo, s1
	v_add_co_u32 v6, vcc_lo, v24, v28
	v_add_co_ci_u32_e32 v7, vcc_lo, 0, v25, vcc_lo
	s_branch .LBB6_1690
	.p2align	6
.LBB6_1689:                             ;   in Loop: Header=BB6_1623 Depth=1
	s_branch .LBB6_1694
.LBB6_1690:                             ;   Parent Loop BB6_1623 Depth=1
                                        ; =>  This Inner Loop Header: Depth=2
	v_mov_b32_e32 v2, 1
	s_and_saveexec_b32 s1, s0
	s_cbranch_execz .LBB6_1692
; %bb.1691:                             ;   in Loop: Header=BB6_1690 Depth=2
	global_load_b32 v2, v[26:27], off offset:20 glc
	s_waitcnt vmcnt(0)
	buffer_gl1_inv
	buffer_gl0_inv
	v_and_b32_e32 v2, 1, v2
.LBB6_1692:                             ;   in Loop: Header=BB6_1690 Depth=2
	s_or_b32 exec_lo, exec_lo, s1
	s_delay_alu instid0(VALU_DEP_1) | instskip(NEXT) | instid1(VALU_DEP_1)
	v_readfirstlane_b32 s1, v2
	s_cmp_eq_u32 s1, 0
	s_cbranch_scc1 .LBB6_1689
; %bb.1693:                             ;   in Loop: Header=BB6_1690 Depth=2
	s_sleep 1
	s_cbranch_execnz .LBB6_1690
.LBB6_1694:                             ;   in Loop: Header=BB6_1623 Depth=1
	global_load_b128 v[6:9], v[6:7], off
	s_and_saveexec_b32 s1, s0
	s_cbranch_execz .LBB6_1622
; %bb.1695:                             ;   in Loop: Header=BB6_1623 Depth=1
	s_clause 0x2
	global_load_b64 v[10:11], v3, s[2:3] offset:40
	global_load_b64 v[14:15], v3, s[2:3] offset:24 glc
	global_load_b64 v[12:13], v3, s[2:3]
	s_waitcnt vmcnt(2)
	v_add_co_u32 v2, vcc_lo, v10, 1
	v_add_co_ci_u32_e32 v16, vcc_lo, 0, v11, vcc_lo
	s_delay_alu instid0(VALU_DEP_2) | instskip(NEXT) | instid1(VALU_DEP_2)
	v_add_co_u32 v8, vcc_lo, v2, s10
	v_add_co_ci_u32_e32 v9, vcc_lo, s11, v16, vcc_lo
	s_delay_alu instid0(VALU_DEP_1) | instskip(SKIP_1) | instid1(VALU_DEP_1)
	v_cmp_eq_u64_e32 vcc_lo, 0, v[8:9]
	v_dual_cndmask_b32 v9, v9, v16 :: v_dual_cndmask_b32 v8, v8, v2
	v_and_b32_e32 v2, v9, v11
	s_delay_alu instid0(VALU_DEP_2) | instskip(NEXT) | instid1(VALU_DEP_2)
	v_and_b32_e32 v10, v8, v10
	v_mul_lo_u32 v2, v2, 24
	s_delay_alu instid0(VALU_DEP_2) | instskip(SKIP_1) | instid1(VALU_DEP_2)
	v_mul_hi_u32 v11, v10, 24
	v_mul_lo_u32 v10, v10, 24
	v_add_nc_u32_e32 v2, v11, v2
	s_waitcnt vmcnt(1)
	v_mov_b32_e32 v11, v15
	s_waitcnt vmcnt(0)
	s_delay_alu instid0(VALU_DEP_3)
	v_add_co_u32 v12, vcc_lo, v12, v10
	v_mov_b32_e32 v10, v14
	v_add_co_ci_u32_e32 v13, vcc_lo, v13, v2, vcc_lo
	global_store_b64 v[12:13], v[14:15], off
	s_waitcnt_vscnt null, 0x0
	global_atomic_cmpswap_b64 v[10:11], v3, v[8:11], s[2:3] offset:24 glc
	s_waitcnt vmcnt(0)
	v_cmp_ne_u64_e32 vcc_lo, v[10:11], v[14:15]
	s_and_b32 exec_lo, exec_lo, vcc_lo
	s_cbranch_execz .LBB6_1622
; %bb.1696:                             ;   in Loop: Header=BB6_1623 Depth=1
	s_mov_b32 s0, 0
.LBB6_1697:                             ;   Parent Loop BB6_1623 Depth=1
                                        ; =>  This Inner Loop Header: Depth=2
	s_sleep 1
	global_store_b64 v[12:13], v[10:11], off
	s_waitcnt_vscnt null, 0x0
	global_atomic_cmpswap_b64 v[14:15], v3, v[8:11], s[2:3] offset:24 glc
	s_waitcnt vmcnt(0)
	v_cmp_eq_u64_e32 vcc_lo, v[14:15], v[10:11]
	v_dual_mov_b32 v10, v14 :: v_dual_mov_b32 v11, v15
	s_or_b32 s0, vcc_lo, s0
	s_delay_alu instid0(SALU_CYCLE_1)
	s_and_not1_b32 exec_lo, exec_lo, s0
	s_cbranch_execnz .LBB6_1697
	s_branch .LBB6_1622
.LBB6_1698:
	s_mov_b32 s0, 0
	s_branch .LBB6_1700
.LBB6_1699:
	s_mov_b32 s0, -1
.LBB6_1700:
	s_delay_alu instid0(SALU_CYCLE_1)
	s_and_b32 vcc_lo, exec_lo, s0
	s_cbranch_vccz .LBB6_1728
; %bb.1701:
	v_readfirstlane_b32 s0, v29
	s_waitcnt vmcnt(0)
	v_mov_b32_e32 v8, 0
	v_mov_b32_e32 v9, 0
	s_delay_alu instid0(VALU_DEP_3) | instskip(NEXT) | instid1(VALU_DEP_1)
	v_cmp_eq_u32_e64 s0, s0, v29
	s_and_saveexec_b32 s1, s0
	s_cbranch_execz .LBB6_1707
; %bb.1702:
	v_mov_b32_e32 v2, 0
	s_mov_b32 s4, exec_lo
	global_load_b64 v[5:6], v2, s[2:3] offset:24 glc
	s_waitcnt vmcnt(0)
	buffer_gl1_inv
	buffer_gl0_inv
	s_clause 0x1
	global_load_b64 v[3:4], v2, s[2:3] offset:40
	global_load_b64 v[7:8], v2, s[2:3]
	s_waitcnt vmcnt(1)
	v_and_b32_e32 v3, v3, v5
	v_and_b32_e32 v4, v4, v6
	s_delay_alu instid0(VALU_DEP_2) | instskip(NEXT) | instid1(VALU_DEP_2)
	v_mul_hi_u32 v9, v3, 24
	v_mul_lo_u32 v4, v4, 24
	v_mul_lo_u32 v3, v3, 24
	s_delay_alu instid0(VALU_DEP_2) | instskip(SKIP_1) | instid1(VALU_DEP_2)
	v_add_nc_u32_e32 v4, v9, v4
	s_waitcnt vmcnt(0)
	v_add_co_u32 v3, vcc_lo, v7, v3
	s_delay_alu instid0(VALU_DEP_2)
	v_add_co_ci_u32_e32 v4, vcc_lo, v8, v4, vcc_lo
	global_load_b64 v[3:4], v[3:4], off glc
	s_waitcnt vmcnt(0)
	global_atomic_cmpswap_b64 v[8:9], v2, v[3:6], s[2:3] offset:24 glc
	s_waitcnt vmcnt(0)
	buffer_gl1_inv
	buffer_gl0_inv
	v_cmpx_ne_u64_e64 v[8:9], v[5:6]
	s_cbranch_execz .LBB6_1706
; %bb.1703:
	s_mov_b32 s5, 0
.LBB6_1704:                             ; =>This Inner Loop Header: Depth=1
	s_sleep 1
	s_clause 0x1
	global_load_b64 v[3:4], v2, s[2:3] offset:40
	global_load_b64 v[10:11], v2, s[2:3]
	v_dual_mov_b32 v5, v8 :: v_dual_mov_b32 v6, v9
	s_waitcnt vmcnt(1)
	s_delay_alu instid0(VALU_DEP_1) | instskip(NEXT) | instid1(VALU_DEP_2)
	v_and_b32_e32 v3, v3, v5
	v_and_b32_e32 v4, v4, v6
	s_waitcnt vmcnt(0)
	s_delay_alu instid0(VALU_DEP_2) | instskip(NEXT) | instid1(VALU_DEP_1)
	v_mad_u64_u32 v[7:8], null, v3, 24, v[10:11]
	v_mov_b32_e32 v3, v8
	s_delay_alu instid0(VALU_DEP_1)
	v_mad_u64_u32 v[8:9], null, v4, 24, v[3:4]
	global_load_b64 v[3:4], v[7:8], off glc
	s_waitcnt vmcnt(0)
	global_atomic_cmpswap_b64 v[8:9], v2, v[3:6], s[2:3] offset:24 glc
	s_waitcnt vmcnt(0)
	buffer_gl1_inv
	buffer_gl0_inv
	v_cmp_eq_u64_e32 vcc_lo, v[8:9], v[5:6]
	s_or_b32 s5, vcc_lo, s5
	s_delay_alu instid0(SALU_CYCLE_1)
	s_and_not1_b32 exec_lo, exec_lo, s5
	s_cbranch_execnz .LBB6_1704
; %bb.1705:
	s_or_b32 exec_lo, exec_lo, s5
.LBB6_1706:
	s_delay_alu instid0(SALU_CYCLE_1)
	s_or_b32 exec_lo, exec_lo, s4
.LBB6_1707:
	s_delay_alu instid0(SALU_CYCLE_1)
	s_or_b32 exec_lo, exec_lo, s1
	v_mov_b32_e32 v2, 0
	v_readfirstlane_b32 s4, v8
	v_readfirstlane_b32 s5, v9
	s_mov_b32 s1, exec_lo
	s_clause 0x1
	global_load_b64 v[10:11], v2, s[2:3] offset:40
	global_load_b128 v[4:7], v2, s[2:3]
	s_waitcnt vmcnt(1)
	v_readfirstlane_b32 s6, v10
	v_readfirstlane_b32 s7, v11
	s_delay_alu instid0(VALU_DEP_1) | instskip(NEXT) | instid1(SALU_CYCLE_1)
	s_and_b64 s[6:7], s[4:5], s[6:7]
	s_mul_i32 s8, s7, 24
	s_mul_hi_u32 s9, s6, 24
	s_mul_i32 s10, s6, 24
	s_add_i32 s9, s9, s8
	s_waitcnt vmcnt(0)
	v_add_co_u32 v8, vcc_lo, v4, s10
	v_add_co_ci_u32_e32 v9, vcc_lo, s9, v5, vcc_lo
	s_and_saveexec_b32 s8, s0
	s_cbranch_execz .LBB6_1709
; %bb.1708:
	v_dual_mov_b32 v10, s1 :: v_dual_mov_b32 v11, v2
	v_dual_mov_b32 v12, 2 :: v_dual_mov_b32 v13, 1
	global_store_b128 v[8:9], v[10:13], off offset:8
.LBB6_1709:
	s_or_b32 exec_lo, exec_lo, s8
	s_lshl_b64 s[6:7], s[6:7], 12
	s_mov_b32 s8, 0
	v_add_co_u32 v6, vcc_lo, v6, s6
	v_add_co_ci_u32_e32 v7, vcc_lo, s7, v7, vcc_lo
	s_mov_b32 s11, s8
	s_mov_b32 s9, s8
	;; [unrolled: 1-line block ×3, first 2 shown]
	v_and_or_b32 v0, 0xffffff1d, v0, 34
	v_mov_b32_e32 v3, v2
	v_readfirstlane_b32 s6, v6
	v_readfirstlane_b32 s7, v7
	v_dual_mov_b32 v13, s11 :: v_dual_mov_b32 v10, s8
	v_dual_mov_b32 v12, s10 :: v_dual_mov_b32 v11, s9
	s_clause 0x3
	global_store_b128 v28, v[0:3], s[6:7]
	global_store_b128 v28, v[10:13], s[6:7] offset:16
	global_store_b128 v28, v[10:13], s[6:7] offset:32
	;; [unrolled: 1-line block ×3, first 2 shown]
	s_and_saveexec_b32 s1, s0
	s_cbranch_execz .LBB6_1717
; %bb.1710:
	v_dual_mov_b32 v6, 0 :: v_dual_mov_b32 v11, s5
	v_mov_b32_e32 v10, s4
	s_clause 0x1
	global_load_b64 v[12:13], v6, s[2:3] offset:32 glc
	global_load_b64 v[0:1], v6, s[2:3] offset:40
	s_waitcnt vmcnt(0)
	v_readfirstlane_b32 s6, v0
	v_readfirstlane_b32 s7, v1
	s_delay_alu instid0(VALU_DEP_1) | instskip(NEXT) | instid1(SALU_CYCLE_1)
	s_and_b64 s[6:7], s[6:7], s[4:5]
	s_mul_i32 s7, s7, 24
	s_mul_hi_u32 s8, s6, 24
	s_mul_i32 s6, s6, 24
	s_add_i32 s8, s8, s7
	v_add_co_u32 v4, vcc_lo, v4, s6
	v_add_co_ci_u32_e32 v5, vcc_lo, s8, v5, vcc_lo
	s_mov_b32 s6, exec_lo
	global_store_b64 v[4:5], v[12:13], off
	s_waitcnt_vscnt null, 0x0
	global_atomic_cmpswap_b64 v[2:3], v6, v[10:13], s[2:3] offset:32 glc
	s_waitcnt vmcnt(0)
	v_cmpx_ne_u64_e64 v[2:3], v[12:13]
	s_cbranch_execz .LBB6_1713
; %bb.1711:
	s_mov_b32 s7, 0
.LBB6_1712:                             ; =>This Inner Loop Header: Depth=1
	v_dual_mov_b32 v0, s4 :: v_dual_mov_b32 v1, s5
	s_sleep 1
	global_store_b64 v[4:5], v[2:3], off
	s_waitcnt_vscnt null, 0x0
	global_atomic_cmpswap_b64 v[0:1], v6, v[0:3], s[2:3] offset:32 glc
	s_waitcnt vmcnt(0)
	v_cmp_eq_u64_e32 vcc_lo, v[0:1], v[2:3]
	v_dual_mov_b32 v3, v1 :: v_dual_mov_b32 v2, v0
	s_or_b32 s7, vcc_lo, s7
	s_delay_alu instid0(SALU_CYCLE_1)
	s_and_not1_b32 exec_lo, exec_lo, s7
	s_cbranch_execnz .LBB6_1712
.LBB6_1713:
	s_or_b32 exec_lo, exec_lo, s6
	v_mov_b32_e32 v3, 0
	s_mov_b32 s7, exec_lo
	s_mov_b32 s6, exec_lo
	v_mbcnt_lo_u32_b32 v2, s7, 0
	global_load_b64 v[0:1], v3, s[2:3] offset:16
	v_cmpx_eq_u32_e32 0, v2
	s_cbranch_execz .LBB6_1715
; %bb.1714:
	s_bcnt1_i32_b32 s7, s7
	s_delay_alu instid0(SALU_CYCLE_1)
	v_mov_b32_e32 v2, s7
	s_waitcnt vmcnt(0)
	global_atomic_add_u64 v[0:1], v[2:3], off offset:8
.LBB6_1715:
	s_or_b32 exec_lo, exec_lo, s6
	s_waitcnt vmcnt(0)
	global_load_b64 v[2:3], v[0:1], off offset:16
	s_waitcnt vmcnt(0)
	v_cmp_eq_u64_e32 vcc_lo, 0, v[2:3]
	s_cbranch_vccnz .LBB6_1717
; %bb.1716:
	global_load_b32 v0, v[0:1], off offset:24
	s_waitcnt vmcnt(0)
	v_dual_mov_b32 v1, 0 :: v_dual_and_b32 v4, 0xffffff, v0
	s_waitcnt_vscnt null, 0x0
	global_store_b64 v[2:3], v[0:1], off
	v_readfirstlane_b32 m0, v4
	s_sendmsg sendmsg(MSG_INTERRUPT)
.LBB6_1717:
	s_or_b32 exec_lo, exec_lo, s1
	s_branch .LBB6_1719
.LBB6_1718:
	s_branch .LBB6_1723
.LBB6_1719:                             ; =>This Inner Loop Header: Depth=1
	v_mov_b32_e32 v0, 1
	s_and_saveexec_b32 s1, s0
	s_cbranch_execz .LBB6_1721
; %bb.1720:                             ;   in Loop: Header=BB6_1719 Depth=1
	global_load_b32 v0, v[8:9], off offset:20 glc
	s_waitcnt vmcnt(0)
	buffer_gl1_inv
	buffer_gl0_inv
	v_and_b32_e32 v0, 1, v0
.LBB6_1721:                             ;   in Loop: Header=BB6_1719 Depth=1
	s_or_b32 exec_lo, exec_lo, s1
	s_delay_alu instid0(VALU_DEP_1) | instskip(NEXT) | instid1(VALU_DEP_1)
	v_readfirstlane_b32 s1, v0
	s_cmp_eq_u32 s1, 0
	s_cbranch_scc1 .LBB6_1718
; %bb.1722:                             ;   in Loop: Header=BB6_1719 Depth=1
	s_sleep 1
	s_cbranch_execnz .LBB6_1719
.LBB6_1723:
	s_and_saveexec_b32 s1, s0
	s_cbranch_execz .LBB6_1727
; %bb.1724:
	v_mov_b32_e32 v6, 0
	s_clause 0x2
	global_load_b64 v[2:3], v6, s[2:3] offset:40
	global_load_b64 v[7:8], v6, s[2:3] offset:24 glc
	global_load_b64 v[4:5], v6, s[2:3]
	s_waitcnt vmcnt(2)
	v_add_co_u32 v9, vcc_lo, v2, 1
	v_add_co_ci_u32_e32 v10, vcc_lo, 0, v3, vcc_lo
	s_delay_alu instid0(VALU_DEP_2) | instskip(NEXT) | instid1(VALU_DEP_2)
	v_add_co_u32 v0, vcc_lo, v9, s4
	v_add_co_ci_u32_e32 v1, vcc_lo, s5, v10, vcc_lo
	s_delay_alu instid0(VALU_DEP_1) | instskip(SKIP_1) | instid1(VALU_DEP_1)
	v_cmp_eq_u64_e32 vcc_lo, 0, v[0:1]
	v_dual_cndmask_b32 v1, v1, v10 :: v_dual_cndmask_b32 v0, v0, v9
	v_and_b32_e32 v3, v1, v3
	s_delay_alu instid0(VALU_DEP_2) | instskip(NEXT) | instid1(VALU_DEP_2)
	v_and_b32_e32 v2, v0, v2
	v_mul_lo_u32 v3, v3, 24
	s_delay_alu instid0(VALU_DEP_2) | instskip(SKIP_1) | instid1(VALU_DEP_2)
	v_mul_hi_u32 v9, v2, 24
	v_mul_lo_u32 v2, v2, 24
	v_add_nc_u32_e32 v3, v9, v3
	s_waitcnt vmcnt(0)
	s_delay_alu instid0(VALU_DEP_2) | instskip(SKIP_1) | instid1(VALU_DEP_3)
	v_add_co_u32 v4, vcc_lo, v4, v2
	v_mov_b32_e32 v2, v7
	v_add_co_ci_u32_e32 v5, vcc_lo, v5, v3, vcc_lo
	v_mov_b32_e32 v3, v8
	global_store_b64 v[4:5], v[7:8], off
	s_waitcnt_vscnt null, 0x0
	global_atomic_cmpswap_b64 v[2:3], v6, v[0:3], s[2:3] offset:24 glc
	s_waitcnt vmcnt(0)
	v_cmp_ne_u64_e32 vcc_lo, v[2:3], v[7:8]
	s_and_b32 exec_lo, exec_lo, vcc_lo
	s_cbranch_execz .LBB6_1727
; %bb.1725:
	s_mov_b32 s0, 0
.LBB6_1726:                             ; =>This Inner Loop Header: Depth=1
	s_sleep 1
	global_store_b64 v[4:5], v[2:3], off
	s_waitcnt_vscnt null, 0x0
	global_atomic_cmpswap_b64 v[7:8], v6, v[0:3], s[2:3] offset:24 glc
	s_waitcnt vmcnt(0)
	v_cmp_eq_u64_e32 vcc_lo, v[7:8], v[2:3]
	v_dual_mov_b32 v2, v7 :: v_dual_mov_b32 v3, v8
	s_or_b32 s0, vcc_lo, s0
	s_delay_alu instid0(SALU_CYCLE_1)
	s_and_not1_b32 exec_lo, exec_lo, s0
	s_cbranch_execnz .LBB6_1726
.LBB6_1727:
	s_or_b32 exec_lo, exec_lo, s1
.LBB6_1728:
	s_getpc_b64 s[0:1]
	s_add_u32 s0, s0, .str.29@rel32@lo+4
	s_addc_u32 s1, s1, .str.29@rel32@hi+12
	s_getpc_b64 s[2:3]
	s_add_u32 s2, s2, .str.19@rel32@lo+4
	s_addc_u32 s3, s3, .str.19@rel32@hi+12
	s_getpc_b64 s[4:5]
	s_add_u32 s4, s4, __PRETTY_FUNCTION__._ZN7VecsMemIjLi8192EE5fetchEi@rel32@lo+4
	s_addc_u32 s5, s5, __PRETTY_FUNCTION__._ZN7VecsMemIjLi8192EE5fetchEi@rel32@hi+12
	s_waitcnt vmcnt(0)
	v_dual_mov_b32 v0, s0 :: v_dual_mov_b32 v1, s1
	v_dual_mov_b32 v2, s2 :: v_dual_mov_b32 v3, s3
	;; [unrolled: 1-line block ×3, first 2 shown]
	v_mov_b32_e32 v6, s5
	s_mov_b64 s[8:9], s[44:45]
	s_getpc_b64 s[6:7]
	s_add_u32 s6, s6, __assert_fail@rel32@lo+4
	s_addc_u32 s7, s7, __assert_fail@rel32@hi+12
	s_delay_alu instid0(SALU_CYCLE_1)
	s_swappc_b64 s[30:31], s[6:7]
	s_or_b32 s19, s19, exec_lo
                                        ; implicit-def: $vgpr40
.LBB6_1729:
	s_or_b32 exec_lo, exec_lo, s17
	s_and_saveexec_b32 s0, s28
	s_delay_alu instid0(SALU_CYCLE_1)
	s_xor_b32 s17, exec_lo, s0
	s_cbranch_execz .LBB6_1865
; %bb.1730:
	s_load_b64 s[2:3], s[44:45], 0x50
	v_mbcnt_lo_u32_b32 v29, -1, 0
	v_mov_b32_e32 v6, 0
	v_mov_b32_e32 v7, 0
	s_delay_alu instid0(VALU_DEP_3) | instskip(NEXT) | instid1(VALU_DEP_1)
	v_readfirstlane_b32 s0, v29
	v_cmp_eq_u32_e64 s0, s0, v29
	s_delay_alu instid0(VALU_DEP_1)
	s_and_saveexec_b32 s1, s0
	s_cbranch_execz .LBB6_1736
; %bb.1731:
	v_mov_b32_e32 v0, 0
	s_mov_b32 s4, exec_lo
	s_waitcnt lgkmcnt(0)
	global_load_b64 v[3:4], v0, s[2:3] offset:24 glc
	s_waitcnt vmcnt(0)
	buffer_gl1_inv
	buffer_gl0_inv
	s_clause 0x1
	global_load_b64 v[1:2], v0, s[2:3] offset:40
	global_load_b64 v[5:6], v0, s[2:3]
	s_waitcnt vmcnt(1)
	v_and_b32_e32 v1, v1, v3
	v_and_b32_e32 v2, v2, v4
	s_delay_alu instid0(VALU_DEP_2) | instskip(NEXT) | instid1(VALU_DEP_2)
	v_mul_hi_u32 v7, v1, 24
	v_mul_lo_u32 v2, v2, 24
	v_mul_lo_u32 v1, v1, 24
	s_delay_alu instid0(VALU_DEP_2) | instskip(SKIP_1) | instid1(VALU_DEP_2)
	v_add_nc_u32_e32 v2, v7, v2
	s_waitcnt vmcnt(0)
	v_add_co_u32 v1, vcc_lo, v5, v1
	s_delay_alu instid0(VALU_DEP_2)
	v_add_co_ci_u32_e32 v2, vcc_lo, v6, v2, vcc_lo
	global_load_b64 v[1:2], v[1:2], off glc
	s_waitcnt vmcnt(0)
	global_atomic_cmpswap_b64 v[6:7], v0, v[1:4], s[2:3] offset:24 glc
	s_waitcnt vmcnt(0)
	buffer_gl1_inv
	buffer_gl0_inv
	v_cmpx_ne_u64_e64 v[6:7], v[3:4]
	s_cbranch_execz .LBB6_1735
; %bb.1732:
	s_mov_b32 s5, 0
.LBB6_1733:                             ; =>This Inner Loop Header: Depth=1
	s_sleep 1
	s_clause 0x1
	global_load_b64 v[1:2], v0, s[2:3] offset:40
	global_load_b64 v[8:9], v0, s[2:3]
	v_dual_mov_b32 v3, v6 :: v_dual_mov_b32 v4, v7
	s_waitcnt vmcnt(1)
	s_delay_alu instid0(VALU_DEP_1) | instskip(NEXT) | instid1(VALU_DEP_2)
	v_and_b32_e32 v1, v1, v3
	v_and_b32_e32 v2, v2, v4
	s_waitcnt vmcnt(0)
	s_delay_alu instid0(VALU_DEP_2) | instskip(NEXT) | instid1(VALU_DEP_1)
	v_mad_u64_u32 v[5:6], null, v1, 24, v[8:9]
	v_mov_b32_e32 v1, v6
	s_delay_alu instid0(VALU_DEP_1)
	v_mad_u64_u32 v[6:7], null, v2, 24, v[1:2]
	global_load_b64 v[1:2], v[5:6], off glc
	s_waitcnt vmcnt(0)
	global_atomic_cmpswap_b64 v[6:7], v0, v[1:4], s[2:3] offset:24 glc
	s_waitcnt vmcnt(0)
	buffer_gl1_inv
	buffer_gl0_inv
	v_cmp_eq_u64_e32 vcc_lo, v[6:7], v[3:4]
	s_or_b32 s5, vcc_lo, s5
	s_delay_alu instid0(SALU_CYCLE_1)
	s_and_not1_b32 exec_lo, exec_lo, s5
	s_cbranch_execnz .LBB6_1733
; %bb.1734:
	s_or_b32 exec_lo, exec_lo, s5
.LBB6_1735:
	s_delay_alu instid0(SALU_CYCLE_1)
	s_or_b32 exec_lo, exec_lo, s4
.LBB6_1736:
	s_delay_alu instid0(SALU_CYCLE_1)
	s_or_b32 exec_lo, exec_lo, s1
	v_mov_b32_e32 v5, 0
	v_readfirstlane_b32 s4, v6
	v_readfirstlane_b32 s5, v7
	s_mov_b32 s1, exec_lo
	s_waitcnt lgkmcnt(0)
	s_clause 0x1
	global_load_b64 v[8:9], v5, s[2:3] offset:40
	global_load_b128 v[0:3], v5, s[2:3]
	s_waitcnt vmcnt(1)
	v_readfirstlane_b32 s6, v8
	v_readfirstlane_b32 s7, v9
	s_delay_alu instid0(VALU_DEP_1) | instskip(NEXT) | instid1(SALU_CYCLE_1)
	s_and_b64 s[6:7], s[4:5], s[6:7]
	s_mul_i32 s8, s7, 24
	s_mul_hi_u32 s9, s6, 24
	s_mul_i32 s10, s6, 24
	s_add_i32 s9, s9, s8
	s_waitcnt vmcnt(0)
	v_add_co_u32 v8, vcc_lo, v0, s10
	v_add_co_ci_u32_e32 v9, vcc_lo, s9, v1, vcc_lo
	s_and_saveexec_b32 s8, s0
	s_cbranch_execz .LBB6_1738
; %bb.1737:
	v_dual_mov_b32 v4, s1 :: v_dual_mov_b32 v7, 1
	v_mov_b32_e32 v6, 2
	global_store_b128 v[8:9], v[4:7], off offset:8
.LBB6_1738:
	s_or_b32 exec_lo, exec_lo, s8
	s_lshl_b64 s[6:7], s[6:7], 12
	v_dual_mov_b32 v7, v5 :: v_dual_lshlrev_b32 v28, 6, v29
	v_add_co_u32 v2, vcc_lo, v2, s6
	v_add_co_ci_u32_e32 v3, vcc_lo, s7, v3, vcc_lo
	s_mov_b32 s8, 0
	s_delay_alu instid0(VALU_DEP_2)
	v_add_co_u32 v10, vcc_lo, v2, v28
	s_mov_b32 s11, s8
	s_mov_b32 s9, s8
	;; [unrolled: 1-line block ×3, first 2 shown]
	v_dual_mov_b32 v4, 33 :: v_dual_mov_b32 v15, s11
	v_dual_mov_b32 v6, v5 :: v_dual_mov_b32 v13, s9
	v_readfirstlane_b32 s6, v2
	v_readfirstlane_b32 s7, v3
	v_add_co_ci_u32_e32 v11, vcc_lo, 0, v3, vcc_lo
	v_mov_b32_e32 v14, s10
	v_mov_b32_e32 v12, s8
	s_clause 0x3
	global_store_b128 v28, v[4:7], s[6:7]
	global_store_b128 v28, v[12:15], s[6:7] offset:16
	global_store_b128 v28, v[12:15], s[6:7] offset:32
	;; [unrolled: 1-line block ×3, first 2 shown]
	s_and_saveexec_b32 s1, s0
	s_cbranch_execz .LBB6_1746
; %bb.1739:
	v_mov_b32_e32 v6, 0
	s_mov_b32 s6, exec_lo
	s_clause 0x1
	global_load_b64 v[14:15], v6, s[2:3] offset:32 glc
	global_load_b64 v[2:3], v6, s[2:3] offset:40
	v_dual_mov_b32 v13, s5 :: v_dual_mov_b32 v12, s4
	s_waitcnt vmcnt(0)
	v_and_b32_e32 v3, s5, v3
	v_and_b32_e32 v2, s4, v2
	s_delay_alu instid0(VALU_DEP_2) | instskip(NEXT) | instid1(VALU_DEP_2)
	v_mul_lo_u32 v3, v3, 24
	v_mul_hi_u32 v4, v2, 24
	v_mul_lo_u32 v2, v2, 24
	s_delay_alu instid0(VALU_DEP_2) | instskip(NEXT) | instid1(VALU_DEP_2)
	v_add_nc_u32_e32 v3, v4, v3
	v_add_co_u32 v4, vcc_lo, v0, v2
	s_delay_alu instid0(VALU_DEP_2)
	v_add_co_ci_u32_e32 v5, vcc_lo, v1, v3, vcc_lo
	global_store_b64 v[4:5], v[14:15], off
	s_waitcnt_vscnt null, 0x0
	global_atomic_cmpswap_b64 v[2:3], v6, v[12:15], s[2:3] offset:32 glc
	s_waitcnt vmcnt(0)
	v_cmpx_ne_u64_e64 v[2:3], v[14:15]
	s_cbranch_execz .LBB6_1742
; %bb.1740:
	s_mov_b32 s7, 0
.LBB6_1741:                             ; =>This Inner Loop Header: Depth=1
	v_dual_mov_b32 v0, s4 :: v_dual_mov_b32 v1, s5
	s_sleep 1
	global_store_b64 v[4:5], v[2:3], off
	s_waitcnt_vscnt null, 0x0
	global_atomic_cmpswap_b64 v[0:1], v6, v[0:3], s[2:3] offset:32 glc
	s_waitcnt vmcnt(0)
	v_cmp_eq_u64_e32 vcc_lo, v[0:1], v[2:3]
	v_dual_mov_b32 v3, v1 :: v_dual_mov_b32 v2, v0
	s_or_b32 s7, vcc_lo, s7
	s_delay_alu instid0(SALU_CYCLE_1)
	s_and_not1_b32 exec_lo, exec_lo, s7
	s_cbranch_execnz .LBB6_1741
.LBB6_1742:
	s_or_b32 exec_lo, exec_lo, s6
	v_mov_b32_e32 v3, 0
	s_mov_b32 s7, exec_lo
	s_mov_b32 s6, exec_lo
	v_mbcnt_lo_u32_b32 v2, s7, 0
	global_load_b64 v[0:1], v3, s[2:3] offset:16
	v_cmpx_eq_u32_e32 0, v2
	s_cbranch_execz .LBB6_1744
; %bb.1743:
	s_bcnt1_i32_b32 s7, s7
	s_delay_alu instid0(SALU_CYCLE_1)
	v_mov_b32_e32 v2, s7
	s_waitcnt vmcnt(0)
	global_atomic_add_u64 v[0:1], v[2:3], off offset:8
.LBB6_1744:
	s_or_b32 exec_lo, exec_lo, s6
	s_waitcnt vmcnt(0)
	global_load_b64 v[2:3], v[0:1], off offset:16
	s_waitcnt vmcnt(0)
	v_cmp_eq_u64_e32 vcc_lo, 0, v[2:3]
	s_cbranch_vccnz .LBB6_1746
; %bb.1745:
	global_load_b32 v0, v[0:1], off offset:24
	s_waitcnt vmcnt(0)
	v_dual_mov_b32 v1, 0 :: v_dual_and_b32 v4, 0xffffff, v0
	s_waitcnt_vscnt null, 0x0
	global_store_b64 v[2:3], v[0:1], off
	v_readfirstlane_b32 m0, v4
	s_sendmsg sendmsg(MSG_INTERRUPT)
.LBB6_1746:
	s_or_b32 exec_lo, exec_lo, s1
	s_branch .LBB6_1748
.LBB6_1747:
	s_branch .LBB6_1752
.LBB6_1748:                             ; =>This Inner Loop Header: Depth=1
	v_mov_b32_e32 v0, 1
	s_and_saveexec_b32 s1, s0
	s_cbranch_execz .LBB6_1750
; %bb.1749:                             ;   in Loop: Header=BB6_1748 Depth=1
	global_load_b32 v0, v[8:9], off offset:20 glc
	s_waitcnt vmcnt(0)
	buffer_gl1_inv
	buffer_gl0_inv
	v_and_b32_e32 v0, 1, v0
.LBB6_1750:                             ;   in Loop: Header=BB6_1748 Depth=1
	s_or_b32 exec_lo, exec_lo, s1
	s_delay_alu instid0(VALU_DEP_1) | instskip(NEXT) | instid1(VALU_DEP_1)
	v_readfirstlane_b32 s1, v0
	s_cmp_eq_u32 s1, 0
	s_cbranch_scc1 .LBB6_1747
; %bb.1751:                             ;   in Loop: Header=BB6_1748 Depth=1
	s_sleep 1
	s_cbranch_execnz .LBB6_1748
.LBB6_1752:
	global_load_b64 v[0:1], v[10:11], off
	s_and_saveexec_b32 s1, s0
	s_cbranch_execz .LBB6_1756
; %bb.1753:
	v_mov_b32_e32 v8, 0
	s_clause 0x2
	global_load_b64 v[4:5], v8, s[2:3] offset:40
	global_load_b64 v[9:10], v8, s[2:3] offset:24 glc
	global_load_b64 v[6:7], v8, s[2:3]
	s_waitcnt vmcnt(2)
	v_add_co_u32 v11, vcc_lo, v4, 1
	v_add_co_ci_u32_e32 v12, vcc_lo, 0, v5, vcc_lo
	s_delay_alu instid0(VALU_DEP_2) | instskip(NEXT) | instid1(VALU_DEP_2)
	v_add_co_u32 v2, vcc_lo, v11, s4
	v_add_co_ci_u32_e32 v3, vcc_lo, s5, v12, vcc_lo
	s_delay_alu instid0(VALU_DEP_1) | instskip(SKIP_1) | instid1(VALU_DEP_1)
	v_cmp_eq_u64_e32 vcc_lo, 0, v[2:3]
	v_dual_cndmask_b32 v3, v3, v12 :: v_dual_cndmask_b32 v2, v2, v11
	v_and_b32_e32 v5, v3, v5
	s_delay_alu instid0(VALU_DEP_2) | instskip(NEXT) | instid1(VALU_DEP_2)
	v_and_b32_e32 v4, v2, v4
	v_mul_lo_u32 v5, v5, 24
	s_delay_alu instid0(VALU_DEP_2) | instskip(SKIP_1) | instid1(VALU_DEP_2)
	v_mul_hi_u32 v11, v4, 24
	v_mul_lo_u32 v4, v4, 24
	v_add_nc_u32_e32 v5, v11, v5
	s_waitcnt vmcnt(0)
	s_delay_alu instid0(VALU_DEP_2) | instskip(SKIP_1) | instid1(VALU_DEP_3)
	v_add_co_u32 v6, vcc_lo, v6, v4
	v_mov_b32_e32 v4, v9
	v_add_co_ci_u32_e32 v7, vcc_lo, v7, v5, vcc_lo
	v_mov_b32_e32 v5, v10
	global_store_b64 v[6:7], v[9:10], off
	s_waitcnt_vscnt null, 0x0
	global_atomic_cmpswap_b64 v[4:5], v8, v[2:5], s[2:3] offset:24 glc
	s_waitcnt vmcnt(0)
	v_cmp_ne_u64_e32 vcc_lo, v[4:5], v[9:10]
	s_and_b32 exec_lo, exec_lo, vcc_lo
	s_cbranch_execz .LBB6_1756
; %bb.1754:
	s_mov_b32 s0, 0
.LBB6_1755:                             ; =>This Inner Loop Header: Depth=1
	s_sleep 1
	global_store_b64 v[6:7], v[4:5], off
	s_waitcnt_vscnt null, 0x0
	global_atomic_cmpswap_b64 v[9:10], v8, v[2:5], s[2:3] offset:24 glc
	s_waitcnt vmcnt(0)
	v_cmp_eq_u64_e32 vcc_lo, v[9:10], v[4:5]
	v_dual_mov_b32 v4, v9 :: v_dual_mov_b32 v5, v10
	s_or_b32 s0, vcc_lo, s0
	s_delay_alu instid0(SALU_CYCLE_1)
	s_and_not1_b32 exec_lo, exec_lo, s0
	s_cbranch_execnz .LBB6_1755
.LBB6_1756:
	s_or_b32 exec_lo, exec_lo, s1
	s_getpc_b64 s[4:5]
	s_add_u32 s4, s4, .str.28@rel32@lo+4
	s_addc_u32 s5, s5, .str.28@rel32@hi+12
	s_delay_alu instid0(SALU_CYCLE_1)
	s_cmp_lg_u64 s[4:5], 0
	s_cbranch_scc0 .LBB6_1835
; %bb.1757:
	s_waitcnt vmcnt(0)
	v_dual_mov_b32 v7, v1 :: v_dual_and_b32 v6, -3, v0
	v_dual_mov_b32 v3, 0 :: v_dual_mov_b32 v4, 2
	v_mov_b32_e32 v5, 1
	s_mov_b64 s[6:7], 35
	s_branch .LBB6_1759
.LBB6_1758:                             ;   in Loop: Header=BB6_1759 Depth=1
	s_or_b32 exec_lo, exec_lo, s1
	s_sub_u32 s6, s6, s8
	s_subb_u32 s7, s7, s9
	s_add_u32 s4, s4, s8
	s_addc_u32 s5, s5, s9
	s_cmp_lg_u64 s[6:7], 0
	s_cbranch_scc0 .LBB6_1834
.LBB6_1759:                             ; =>This Loop Header: Depth=1
                                        ;     Child Loop BB6_1762 Depth 2
                                        ;     Child Loop BB6_1767 Depth 2
	;; [unrolled: 1-line block ×11, first 2 shown]
	v_cmp_lt_u64_e64 s0, s[6:7], 56
	v_cmp_gt_u64_e64 s1, s[6:7], 7
                                        ; implicit-def: $sgpr14
	s_delay_alu instid0(VALU_DEP_2) | instskip(SKIP_2) | instid1(VALU_DEP_1)
	s_and_b32 s0, s0, exec_lo
	s_cselect_b32 s9, s7, 0
	s_cselect_b32 s8, s6, 56
	s_and_b32 vcc_lo, exec_lo, s1
	s_mov_b32 s0, -1
	s_cbranch_vccnz .LBB6_1769
; %bb.1760:                             ;   in Loop: Header=BB6_1759 Depth=1
	s_waitcnt vmcnt(0)
	v_mov_b32_e32 v8, 0
	v_mov_b32_e32 v9, 0
	s_cmp_eq_u64 s[6:7], 0
	s_mov_b64 s[0:1], 0
	s_cbranch_scc1 .LBB6_1763
; %bb.1761:                             ;   in Loop: Header=BB6_1759 Depth=1
	v_mov_b32_e32 v8, 0
	v_mov_b32_e32 v9, 0
	s_lshl_b64 s[10:11], s[8:9], 3
	s_mov_b64 s[12:13], s[4:5]
.LBB6_1762:                             ;   Parent Loop BB6_1759 Depth=1
                                        ; =>  This Inner Loop Header: Depth=2
	global_load_u8 v2, v3, s[12:13]
	s_waitcnt vmcnt(0)
	v_and_b32_e32 v2, 0xffff, v2
	s_delay_alu instid0(VALU_DEP_1)
	v_lshlrev_b64 v[10:11], s0, v[2:3]
	s_add_u32 s0, s0, 8
	s_addc_u32 s1, s1, 0
	s_add_u32 s12, s12, 1
	s_addc_u32 s13, s13, 0
	s_cmp_lg_u32 s10, s0
	v_or_b32_e32 v8, v10, v8
	v_or_b32_e32 v9, v11, v9
	s_cbranch_scc1 .LBB6_1762
.LBB6_1763:                             ;   in Loop: Header=BB6_1759 Depth=1
	s_mov_b32 s14, 0
	s_mov_b64 s[0:1], s[4:5]
	s_cbranch_execz .LBB6_1770
.LBB6_1764:                             ;   in Loop: Header=BB6_1759 Depth=1
	s_cmp_gt_u32 s14, 7
	s_cbranch_scc1 .LBB6_1771
.LBB6_1765:                             ;   in Loop: Header=BB6_1759 Depth=1
	v_mov_b32_e32 v10, 0
	v_mov_b32_e32 v11, 0
	s_cmp_eq_u32 s14, 0
	s_cbranch_scc1 .LBB6_1768
; %bb.1766:                             ;   in Loop: Header=BB6_1759 Depth=1
	s_mov_b64 s[10:11], 0
	s_mov_b64 s[12:13], 0
.LBB6_1767:                             ;   Parent Loop BB6_1759 Depth=1
                                        ; =>  This Inner Loop Header: Depth=2
	s_delay_alu instid0(SALU_CYCLE_1)
	s_add_u32 s26, s0, s12
	s_addc_u32 s27, s1, s13
	s_add_u32 s12, s12, 1
	global_load_u8 v2, v3, s[26:27]
	s_addc_u32 s13, s13, 0
	s_waitcnt vmcnt(0)
	v_and_b32_e32 v2, 0xffff, v2
	s_delay_alu instid0(VALU_DEP_1) | instskip(SKIP_3) | instid1(VALU_DEP_1)
	v_lshlrev_b64 v[12:13], s10, v[2:3]
	s_add_u32 s10, s10, 8
	s_addc_u32 s11, s11, 0
	s_cmp_lg_u32 s14, s12
	v_or_b32_e32 v10, v12, v10
	s_delay_alu instid0(VALU_DEP_2)
	v_or_b32_e32 v11, v13, v11
	s_cbranch_scc1 .LBB6_1767
.LBB6_1768:                             ;   in Loop: Header=BB6_1759 Depth=1
	s_mov_b32 s15, 0
	s_cbranch_execz .LBB6_1772
	s_branch .LBB6_1773
.LBB6_1769:                             ;   in Loop: Header=BB6_1759 Depth=1
	s_and_not1_b32 vcc_lo, exec_lo, s0
	s_mov_b64 s[0:1], s[4:5]
	s_cbranch_vccnz .LBB6_1764
.LBB6_1770:                             ;   in Loop: Header=BB6_1759 Depth=1
	global_load_b64 v[8:9], v3, s[4:5]
	s_add_i32 s14, s8, -8
	s_add_u32 s0, s4, 8
	s_addc_u32 s1, s5, 0
	s_cmp_gt_u32 s14, 7
	s_cbranch_scc0 .LBB6_1765
.LBB6_1771:                             ;   in Loop: Header=BB6_1759 Depth=1
                                        ; implicit-def: $vgpr10_vgpr11
                                        ; implicit-def: $sgpr15
.LBB6_1772:                             ;   in Loop: Header=BB6_1759 Depth=1
	global_load_b64 v[10:11], v3, s[0:1]
	s_add_i32 s15, s14, -8
	s_add_u32 s0, s0, 8
	s_addc_u32 s1, s1, 0
.LBB6_1773:                             ;   in Loop: Header=BB6_1759 Depth=1
	s_cmp_gt_u32 s15, 7
	s_cbranch_scc1 .LBB6_1778
; %bb.1774:                             ;   in Loop: Header=BB6_1759 Depth=1
	v_mov_b32_e32 v12, 0
	v_mov_b32_e32 v13, 0
	s_cmp_eq_u32 s15, 0
	s_cbranch_scc1 .LBB6_1777
; %bb.1775:                             ;   in Loop: Header=BB6_1759 Depth=1
	s_mov_b64 s[10:11], 0
	s_mov_b64 s[12:13], 0
.LBB6_1776:                             ;   Parent Loop BB6_1759 Depth=1
                                        ; =>  This Inner Loop Header: Depth=2
	s_delay_alu instid0(SALU_CYCLE_1)
	s_add_u32 s26, s0, s12
	s_addc_u32 s27, s1, s13
	s_add_u32 s12, s12, 1
	global_load_u8 v2, v3, s[26:27]
	s_addc_u32 s13, s13, 0
	s_waitcnt vmcnt(0)
	v_and_b32_e32 v2, 0xffff, v2
	s_delay_alu instid0(VALU_DEP_1) | instskip(SKIP_3) | instid1(VALU_DEP_1)
	v_lshlrev_b64 v[14:15], s10, v[2:3]
	s_add_u32 s10, s10, 8
	s_addc_u32 s11, s11, 0
	s_cmp_lg_u32 s15, s12
	v_or_b32_e32 v12, v14, v12
	s_delay_alu instid0(VALU_DEP_2)
	v_or_b32_e32 v13, v15, v13
	s_cbranch_scc1 .LBB6_1776
.LBB6_1777:                             ;   in Loop: Header=BB6_1759 Depth=1
	s_mov_b32 s14, 0
	s_cbranch_execz .LBB6_1779
	s_branch .LBB6_1780
.LBB6_1778:                             ;   in Loop: Header=BB6_1759 Depth=1
                                        ; implicit-def: $sgpr14
.LBB6_1779:                             ;   in Loop: Header=BB6_1759 Depth=1
	global_load_b64 v[12:13], v3, s[0:1]
	s_add_i32 s14, s15, -8
	s_add_u32 s0, s0, 8
	s_addc_u32 s1, s1, 0
.LBB6_1780:                             ;   in Loop: Header=BB6_1759 Depth=1
	s_cmp_gt_u32 s14, 7
	s_cbranch_scc1 .LBB6_1785
; %bb.1781:                             ;   in Loop: Header=BB6_1759 Depth=1
	v_mov_b32_e32 v14, 0
	v_mov_b32_e32 v15, 0
	s_cmp_eq_u32 s14, 0
	s_cbranch_scc1 .LBB6_1784
; %bb.1782:                             ;   in Loop: Header=BB6_1759 Depth=1
	s_mov_b64 s[10:11], 0
	s_mov_b64 s[12:13], 0
.LBB6_1783:                             ;   Parent Loop BB6_1759 Depth=1
                                        ; =>  This Inner Loop Header: Depth=2
	s_delay_alu instid0(SALU_CYCLE_1)
	s_add_u32 s26, s0, s12
	s_addc_u32 s27, s1, s13
	s_add_u32 s12, s12, 1
	global_load_u8 v2, v3, s[26:27]
	s_addc_u32 s13, s13, 0
	s_waitcnt vmcnt(0)
	v_and_b32_e32 v2, 0xffff, v2
	s_delay_alu instid0(VALU_DEP_1) | instskip(SKIP_3) | instid1(VALU_DEP_1)
	v_lshlrev_b64 v[16:17], s10, v[2:3]
	s_add_u32 s10, s10, 8
	s_addc_u32 s11, s11, 0
	s_cmp_lg_u32 s14, s12
	v_or_b32_e32 v14, v16, v14
	s_delay_alu instid0(VALU_DEP_2)
	v_or_b32_e32 v15, v17, v15
	s_cbranch_scc1 .LBB6_1783
.LBB6_1784:                             ;   in Loop: Header=BB6_1759 Depth=1
	s_mov_b32 s15, 0
	s_cbranch_execz .LBB6_1786
	s_branch .LBB6_1787
.LBB6_1785:                             ;   in Loop: Header=BB6_1759 Depth=1
                                        ; implicit-def: $vgpr14_vgpr15
                                        ; implicit-def: $sgpr15
.LBB6_1786:                             ;   in Loop: Header=BB6_1759 Depth=1
	global_load_b64 v[14:15], v3, s[0:1]
	s_add_i32 s15, s14, -8
	s_add_u32 s0, s0, 8
	s_addc_u32 s1, s1, 0
.LBB6_1787:                             ;   in Loop: Header=BB6_1759 Depth=1
	s_cmp_gt_u32 s15, 7
	s_cbranch_scc1 .LBB6_1792
; %bb.1788:                             ;   in Loop: Header=BB6_1759 Depth=1
	v_mov_b32_e32 v16, 0
	v_mov_b32_e32 v17, 0
	s_cmp_eq_u32 s15, 0
	s_cbranch_scc1 .LBB6_1791
; %bb.1789:                             ;   in Loop: Header=BB6_1759 Depth=1
	s_mov_b64 s[10:11], 0
	s_mov_b64 s[12:13], 0
.LBB6_1790:                             ;   Parent Loop BB6_1759 Depth=1
                                        ; =>  This Inner Loop Header: Depth=2
	s_delay_alu instid0(SALU_CYCLE_1)
	s_add_u32 s26, s0, s12
	s_addc_u32 s27, s1, s13
	s_add_u32 s12, s12, 1
	global_load_u8 v2, v3, s[26:27]
	s_addc_u32 s13, s13, 0
	s_waitcnt vmcnt(0)
	v_and_b32_e32 v2, 0xffff, v2
	s_delay_alu instid0(VALU_DEP_1) | instskip(SKIP_3) | instid1(VALU_DEP_1)
	v_lshlrev_b64 v[18:19], s10, v[2:3]
	s_add_u32 s10, s10, 8
	s_addc_u32 s11, s11, 0
	s_cmp_lg_u32 s15, s12
	v_or_b32_e32 v16, v18, v16
	s_delay_alu instid0(VALU_DEP_2)
	v_or_b32_e32 v17, v19, v17
	s_cbranch_scc1 .LBB6_1790
.LBB6_1791:                             ;   in Loop: Header=BB6_1759 Depth=1
	s_mov_b32 s14, 0
	s_cbranch_execz .LBB6_1793
	s_branch .LBB6_1794
.LBB6_1792:                             ;   in Loop: Header=BB6_1759 Depth=1
                                        ; implicit-def: $sgpr14
.LBB6_1793:                             ;   in Loop: Header=BB6_1759 Depth=1
	global_load_b64 v[16:17], v3, s[0:1]
	s_add_i32 s14, s15, -8
	s_add_u32 s0, s0, 8
	s_addc_u32 s1, s1, 0
.LBB6_1794:                             ;   in Loop: Header=BB6_1759 Depth=1
	s_cmp_gt_u32 s14, 7
	s_cbranch_scc1 .LBB6_1799
; %bb.1795:                             ;   in Loop: Header=BB6_1759 Depth=1
	v_mov_b32_e32 v18, 0
	v_mov_b32_e32 v19, 0
	s_cmp_eq_u32 s14, 0
	s_cbranch_scc1 .LBB6_1798
; %bb.1796:                             ;   in Loop: Header=BB6_1759 Depth=1
	s_mov_b64 s[10:11], 0
	s_mov_b64 s[12:13], 0
.LBB6_1797:                             ;   Parent Loop BB6_1759 Depth=1
                                        ; =>  This Inner Loop Header: Depth=2
	s_delay_alu instid0(SALU_CYCLE_1)
	s_add_u32 s26, s0, s12
	s_addc_u32 s27, s1, s13
	s_add_u32 s12, s12, 1
	global_load_u8 v2, v3, s[26:27]
	s_addc_u32 s13, s13, 0
	s_waitcnt vmcnt(0)
	v_and_b32_e32 v2, 0xffff, v2
	s_delay_alu instid0(VALU_DEP_1) | instskip(SKIP_3) | instid1(VALU_DEP_1)
	v_lshlrev_b64 v[20:21], s10, v[2:3]
	s_add_u32 s10, s10, 8
	s_addc_u32 s11, s11, 0
	s_cmp_lg_u32 s14, s12
	v_or_b32_e32 v18, v20, v18
	s_delay_alu instid0(VALU_DEP_2)
	v_or_b32_e32 v19, v21, v19
	s_cbranch_scc1 .LBB6_1797
.LBB6_1798:                             ;   in Loop: Header=BB6_1759 Depth=1
	s_mov_b32 s15, 0
	s_cbranch_execz .LBB6_1800
	s_branch .LBB6_1801
.LBB6_1799:                             ;   in Loop: Header=BB6_1759 Depth=1
                                        ; implicit-def: $vgpr18_vgpr19
                                        ; implicit-def: $sgpr15
.LBB6_1800:                             ;   in Loop: Header=BB6_1759 Depth=1
	global_load_b64 v[18:19], v3, s[0:1]
	s_add_i32 s15, s14, -8
	s_add_u32 s0, s0, 8
	s_addc_u32 s1, s1, 0
.LBB6_1801:                             ;   in Loop: Header=BB6_1759 Depth=1
	s_cmp_gt_u32 s15, 7
	s_cbranch_scc1 .LBB6_1806
; %bb.1802:                             ;   in Loop: Header=BB6_1759 Depth=1
	v_mov_b32_e32 v20, 0
	v_mov_b32_e32 v21, 0
	s_cmp_eq_u32 s15, 0
	s_cbranch_scc1 .LBB6_1805
; %bb.1803:                             ;   in Loop: Header=BB6_1759 Depth=1
	s_mov_b64 s[10:11], 0
	s_mov_b64 s[12:13], s[0:1]
.LBB6_1804:                             ;   Parent Loop BB6_1759 Depth=1
                                        ; =>  This Inner Loop Header: Depth=2
	global_load_u8 v2, v3, s[12:13]
	s_add_i32 s15, s15, -1
	s_waitcnt vmcnt(0)
	v_and_b32_e32 v2, 0xffff, v2
	s_delay_alu instid0(VALU_DEP_1)
	v_lshlrev_b64 v[22:23], s10, v[2:3]
	s_add_u32 s10, s10, 8
	s_addc_u32 s11, s11, 0
	s_add_u32 s12, s12, 1
	s_addc_u32 s13, s13, 0
	s_cmp_lg_u32 s15, 0
	v_or_b32_e32 v20, v22, v20
	v_or_b32_e32 v21, v23, v21
	s_cbranch_scc1 .LBB6_1804
.LBB6_1805:                             ;   in Loop: Header=BB6_1759 Depth=1
	s_cbranch_execz .LBB6_1807
	s_branch .LBB6_1808
.LBB6_1806:                             ;   in Loop: Header=BB6_1759 Depth=1
.LBB6_1807:                             ;   in Loop: Header=BB6_1759 Depth=1
	global_load_b64 v[20:21], v3, s[0:1]
.LBB6_1808:                             ;   in Loop: Header=BB6_1759 Depth=1
	v_readfirstlane_b32 s0, v29
	v_mov_b32_e32 v26, 0
	v_mov_b32_e32 v27, 0
	s_delay_alu instid0(VALU_DEP_3) | instskip(NEXT) | instid1(VALU_DEP_1)
	v_cmp_eq_u32_e64 s0, s0, v29
	s_and_saveexec_b32 s1, s0
	s_cbranch_execz .LBB6_1814
; %bb.1809:                             ;   in Loop: Header=BB6_1759 Depth=1
	global_load_b64 v[24:25], v3, s[2:3] offset:24 glc
	s_waitcnt vmcnt(0)
	buffer_gl1_inv
	buffer_gl0_inv
	s_clause 0x1
	global_load_b64 v[22:23], v3, s[2:3] offset:40
	global_load_b64 v[26:27], v3, s[2:3]
	s_mov_b32 s10, exec_lo
	s_waitcnt vmcnt(1)
	v_and_b32_e32 v2, v23, v25
	v_and_b32_e32 v22, v22, v24
	s_delay_alu instid0(VALU_DEP_2) | instskip(NEXT) | instid1(VALU_DEP_2)
	v_mul_lo_u32 v2, v2, 24
	v_mul_hi_u32 v23, v22, 24
	v_mul_lo_u32 v22, v22, 24
	s_delay_alu instid0(VALU_DEP_2) | instskip(SKIP_1) | instid1(VALU_DEP_2)
	v_add_nc_u32_e32 v2, v23, v2
	s_waitcnt vmcnt(0)
	v_add_co_u32 v22, vcc_lo, v26, v22
	s_delay_alu instid0(VALU_DEP_2)
	v_add_co_ci_u32_e32 v23, vcc_lo, v27, v2, vcc_lo
	global_load_b64 v[22:23], v[22:23], off glc
	s_waitcnt vmcnt(0)
	global_atomic_cmpswap_b64 v[26:27], v3, v[22:25], s[2:3] offset:24 glc
	s_waitcnt vmcnt(0)
	buffer_gl1_inv
	buffer_gl0_inv
	v_cmpx_ne_u64_e64 v[26:27], v[24:25]
	s_cbranch_execz .LBB6_1813
; %bb.1810:                             ;   in Loop: Header=BB6_1759 Depth=1
	s_mov_b32 s11, 0
	.p2align	6
.LBB6_1811:                             ;   Parent Loop BB6_1759 Depth=1
                                        ; =>  This Inner Loop Header: Depth=2
	s_sleep 1
	s_clause 0x1
	global_load_b64 v[22:23], v3, s[2:3] offset:40
	global_load_b64 v[30:31], v3, s[2:3]
	v_dual_mov_b32 v24, v26 :: v_dual_mov_b32 v25, v27
	s_waitcnt vmcnt(1)
	s_delay_alu instid0(VALU_DEP_1) | instskip(SKIP_1) | instid1(VALU_DEP_1)
	v_and_b32_e32 v2, v22, v24
	s_waitcnt vmcnt(0)
	v_mad_u64_u32 v[26:27], null, v2, 24, v[30:31]
	v_and_b32_e32 v30, v23, v25
	s_delay_alu instid0(VALU_DEP_2) | instskip(NEXT) | instid1(VALU_DEP_1)
	v_mov_b32_e32 v2, v27
	v_mad_u64_u32 v[22:23], null, v30, 24, v[2:3]
	s_delay_alu instid0(VALU_DEP_1)
	v_mov_b32_e32 v27, v22
	global_load_b64 v[22:23], v[26:27], off glc
	s_waitcnt vmcnt(0)
	global_atomic_cmpswap_b64 v[26:27], v3, v[22:25], s[2:3] offset:24 glc
	s_waitcnt vmcnt(0)
	buffer_gl1_inv
	buffer_gl0_inv
	v_cmp_eq_u64_e32 vcc_lo, v[26:27], v[24:25]
	s_or_b32 s11, vcc_lo, s11
	s_delay_alu instid0(SALU_CYCLE_1)
	s_and_not1_b32 exec_lo, exec_lo, s11
	s_cbranch_execnz .LBB6_1811
; %bb.1812:                             ;   in Loop: Header=BB6_1759 Depth=1
	s_or_b32 exec_lo, exec_lo, s11
.LBB6_1813:                             ;   in Loop: Header=BB6_1759 Depth=1
	s_delay_alu instid0(SALU_CYCLE_1)
	s_or_b32 exec_lo, exec_lo, s10
.LBB6_1814:                             ;   in Loop: Header=BB6_1759 Depth=1
	s_delay_alu instid0(SALU_CYCLE_1)
	s_or_b32 exec_lo, exec_lo, s1
	s_clause 0x1
	global_load_b64 v[30:31], v3, s[2:3] offset:40
	global_load_b128 v[22:25], v3, s[2:3]
	v_readfirstlane_b32 s10, v26
	v_readfirstlane_b32 s11, v27
	s_mov_b32 s1, exec_lo
	s_waitcnt vmcnt(1)
	v_readfirstlane_b32 s12, v30
	v_readfirstlane_b32 s13, v31
	s_delay_alu instid0(VALU_DEP_1) | instskip(NEXT) | instid1(SALU_CYCLE_1)
	s_and_b64 s[12:13], s[10:11], s[12:13]
	s_mul_i32 s14, s13, 24
	s_mul_hi_u32 s15, s12, 24
	s_mul_i32 s16, s12, 24
	s_add_i32 s15, s15, s14
	s_waitcnt vmcnt(0)
	v_add_co_u32 v26, vcc_lo, v22, s16
	v_add_co_ci_u32_e32 v27, vcc_lo, s15, v23, vcc_lo
	s_and_saveexec_b32 s14, s0
	s_cbranch_execz .LBB6_1816
; %bb.1815:                             ;   in Loop: Header=BB6_1759 Depth=1
	v_mov_b32_e32 v2, s1
	global_store_b128 v[26:27], v[2:5], off offset:8
.LBB6_1816:                             ;   in Loop: Header=BB6_1759 Depth=1
	s_or_b32 exec_lo, exec_lo, s14
	s_lshl_b64 s[12:13], s[12:13], 12
	v_or_b32_e32 v2, 2, v6
	v_add_co_u32 v24, vcc_lo, v24, s12
	v_add_co_ci_u32_e32 v25, vcc_lo, s13, v25, vcc_lo
	v_cmp_gt_u64_e64 vcc_lo, s[6:7], 56
	s_lshl_b32 s1, s8, 2
	s_delay_alu instid0(VALU_DEP_3) | instskip(SKIP_4) | instid1(VALU_DEP_1)
	v_readfirstlane_b32 s12, v24
	s_add_i32 s1, s1, 28
	v_readfirstlane_b32 s13, v25
	s_and_b32 s1, s1, 0x1e0
	v_cndmask_b32_e32 v2, v2, v6, vcc_lo
	v_and_or_b32 v6, 0xffffff1f, v2, s1
	s_clause 0x3
	global_store_b128 v28, v[6:9], s[12:13]
	global_store_b128 v28, v[10:13], s[12:13] offset:16
	global_store_b128 v28, v[14:17], s[12:13] offset:32
	;; [unrolled: 1-line block ×3, first 2 shown]
	s_and_saveexec_b32 s1, s0
	s_cbranch_execz .LBB6_1824
; %bb.1817:                             ;   in Loop: Header=BB6_1759 Depth=1
	s_clause 0x1
	global_load_b64 v[14:15], v3, s[2:3] offset:32 glc
	global_load_b64 v[6:7], v3, s[2:3] offset:40
	v_dual_mov_b32 v12, s10 :: v_dual_mov_b32 v13, s11
	s_waitcnt vmcnt(0)
	v_readfirstlane_b32 s12, v6
	v_readfirstlane_b32 s13, v7
	s_delay_alu instid0(VALU_DEP_1) | instskip(NEXT) | instid1(SALU_CYCLE_1)
	s_and_b64 s[12:13], s[12:13], s[10:11]
	s_mul_i32 s13, s13, 24
	s_mul_hi_u32 s14, s12, 24
	s_mul_i32 s12, s12, 24
	s_add_i32 s14, s14, s13
	v_add_co_u32 v10, vcc_lo, v22, s12
	v_add_co_ci_u32_e32 v11, vcc_lo, s14, v23, vcc_lo
	s_mov_b32 s12, exec_lo
	global_store_b64 v[10:11], v[14:15], off
	s_waitcnt_vscnt null, 0x0
	global_atomic_cmpswap_b64 v[8:9], v3, v[12:15], s[2:3] offset:32 glc
	s_waitcnt vmcnt(0)
	v_cmpx_ne_u64_e64 v[8:9], v[14:15]
	s_cbranch_execz .LBB6_1820
; %bb.1818:                             ;   in Loop: Header=BB6_1759 Depth=1
	s_mov_b32 s13, 0
.LBB6_1819:                             ;   Parent Loop BB6_1759 Depth=1
                                        ; =>  This Inner Loop Header: Depth=2
	v_dual_mov_b32 v6, s10 :: v_dual_mov_b32 v7, s11
	s_sleep 1
	global_store_b64 v[10:11], v[8:9], off
	s_waitcnt_vscnt null, 0x0
	global_atomic_cmpswap_b64 v[6:7], v3, v[6:9], s[2:3] offset:32 glc
	s_waitcnt vmcnt(0)
	v_cmp_eq_u64_e32 vcc_lo, v[6:7], v[8:9]
	v_dual_mov_b32 v9, v7 :: v_dual_mov_b32 v8, v6
	s_or_b32 s13, vcc_lo, s13
	s_delay_alu instid0(SALU_CYCLE_1)
	s_and_not1_b32 exec_lo, exec_lo, s13
	s_cbranch_execnz .LBB6_1819
.LBB6_1820:                             ;   in Loop: Header=BB6_1759 Depth=1
	s_or_b32 exec_lo, exec_lo, s12
	global_load_b64 v[6:7], v3, s[2:3] offset:16
	s_mov_b32 s13, exec_lo
	s_mov_b32 s12, exec_lo
	v_mbcnt_lo_u32_b32 v2, s13, 0
	s_delay_alu instid0(VALU_DEP_1)
	v_cmpx_eq_u32_e32 0, v2
	s_cbranch_execz .LBB6_1822
; %bb.1821:                             ;   in Loop: Header=BB6_1759 Depth=1
	s_bcnt1_i32_b32 s13, s13
	s_delay_alu instid0(SALU_CYCLE_1)
	v_mov_b32_e32 v2, s13
	s_waitcnt vmcnt(0)
	global_atomic_add_u64 v[6:7], v[2:3], off offset:8
.LBB6_1822:                             ;   in Loop: Header=BB6_1759 Depth=1
	s_or_b32 exec_lo, exec_lo, s12
	s_waitcnt vmcnt(0)
	global_load_b64 v[8:9], v[6:7], off offset:16
	s_waitcnt vmcnt(0)
	v_cmp_eq_u64_e32 vcc_lo, 0, v[8:9]
	s_cbranch_vccnz .LBB6_1824
; %bb.1823:                             ;   in Loop: Header=BB6_1759 Depth=1
	global_load_b32 v2, v[6:7], off offset:24
	s_waitcnt vmcnt(0)
	v_and_b32_e32 v6, 0xffffff, v2
	s_waitcnt_vscnt null, 0x0
	global_store_b64 v[8:9], v[2:3], off
	v_readfirstlane_b32 m0, v6
	s_sendmsg sendmsg(MSG_INTERRUPT)
.LBB6_1824:                             ;   in Loop: Header=BB6_1759 Depth=1
	s_or_b32 exec_lo, exec_lo, s1
	v_add_co_u32 v6, vcc_lo, v24, v28
	v_add_co_ci_u32_e32 v7, vcc_lo, 0, v25, vcc_lo
	s_branch .LBB6_1826
	.p2align	6
.LBB6_1825:                             ;   in Loop: Header=BB6_1759 Depth=1
	s_branch .LBB6_1830
.LBB6_1826:                             ;   Parent Loop BB6_1759 Depth=1
                                        ; =>  This Inner Loop Header: Depth=2
	v_mov_b32_e32 v2, 1
	s_and_saveexec_b32 s1, s0
	s_cbranch_execz .LBB6_1828
; %bb.1827:                             ;   in Loop: Header=BB6_1826 Depth=2
	global_load_b32 v2, v[26:27], off offset:20 glc
	s_waitcnt vmcnt(0)
	buffer_gl1_inv
	buffer_gl0_inv
	v_and_b32_e32 v2, 1, v2
.LBB6_1828:                             ;   in Loop: Header=BB6_1826 Depth=2
	s_or_b32 exec_lo, exec_lo, s1
	s_delay_alu instid0(VALU_DEP_1) | instskip(NEXT) | instid1(VALU_DEP_1)
	v_readfirstlane_b32 s1, v2
	s_cmp_eq_u32 s1, 0
	s_cbranch_scc1 .LBB6_1825
; %bb.1829:                             ;   in Loop: Header=BB6_1826 Depth=2
	s_sleep 1
	s_cbranch_execnz .LBB6_1826
.LBB6_1830:                             ;   in Loop: Header=BB6_1759 Depth=1
	global_load_b128 v[6:9], v[6:7], off
	s_and_saveexec_b32 s1, s0
	s_cbranch_execz .LBB6_1758
; %bb.1831:                             ;   in Loop: Header=BB6_1759 Depth=1
	s_clause 0x2
	global_load_b64 v[10:11], v3, s[2:3] offset:40
	global_load_b64 v[14:15], v3, s[2:3] offset:24 glc
	global_load_b64 v[12:13], v3, s[2:3]
	s_waitcnt vmcnt(2)
	v_add_co_u32 v2, vcc_lo, v10, 1
	v_add_co_ci_u32_e32 v16, vcc_lo, 0, v11, vcc_lo
	s_delay_alu instid0(VALU_DEP_2) | instskip(NEXT) | instid1(VALU_DEP_2)
	v_add_co_u32 v8, vcc_lo, v2, s10
	v_add_co_ci_u32_e32 v9, vcc_lo, s11, v16, vcc_lo
	s_delay_alu instid0(VALU_DEP_1) | instskip(SKIP_1) | instid1(VALU_DEP_1)
	v_cmp_eq_u64_e32 vcc_lo, 0, v[8:9]
	v_dual_cndmask_b32 v9, v9, v16 :: v_dual_cndmask_b32 v8, v8, v2
	v_and_b32_e32 v2, v9, v11
	s_delay_alu instid0(VALU_DEP_2) | instskip(NEXT) | instid1(VALU_DEP_2)
	v_and_b32_e32 v10, v8, v10
	v_mul_lo_u32 v2, v2, 24
	s_delay_alu instid0(VALU_DEP_2) | instskip(SKIP_1) | instid1(VALU_DEP_2)
	v_mul_hi_u32 v11, v10, 24
	v_mul_lo_u32 v10, v10, 24
	v_add_nc_u32_e32 v2, v11, v2
	s_waitcnt vmcnt(1)
	v_mov_b32_e32 v11, v15
	s_waitcnt vmcnt(0)
	s_delay_alu instid0(VALU_DEP_3)
	v_add_co_u32 v12, vcc_lo, v12, v10
	v_mov_b32_e32 v10, v14
	v_add_co_ci_u32_e32 v13, vcc_lo, v13, v2, vcc_lo
	global_store_b64 v[12:13], v[14:15], off
	s_waitcnt_vscnt null, 0x0
	global_atomic_cmpswap_b64 v[10:11], v3, v[8:11], s[2:3] offset:24 glc
	s_waitcnt vmcnt(0)
	v_cmp_ne_u64_e32 vcc_lo, v[10:11], v[14:15]
	s_and_b32 exec_lo, exec_lo, vcc_lo
	s_cbranch_execz .LBB6_1758
; %bb.1832:                             ;   in Loop: Header=BB6_1759 Depth=1
	s_mov_b32 s0, 0
.LBB6_1833:                             ;   Parent Loop BB6_1759 Depth=1
                                        ; =>  This Inner Loop Header: Depth=2
	s_sleep 1
	global_store_b64 v[12:13], v[10:11], off
	s_waitcnt_vscnt null, 0x0
	global_atomic_cmpswap_b64 v[14:15], v3, v[8:11], s[2:3] offset:24 glc
	s_waitcnt vmcnt(0)
	v_cmp_eq_u64_e32 vcc_lo, v[14:15], v[10:11]
	v_dual_mov_b32 v10, v14 :: v_dual_mov_b32 v11, v15
	s_or_b32 s0, vcc_lo, s0
	s_delay_alu instid0(SALU_CYCLE_1)
	s_and_not1_b32 exec_lo, exec_lo, s0
	s_cbranch_execnz .LBB6_1833
	s_branch .LBB6_1758
.LBB6_1834:
	s_mov_b32 s0, 0
	s_branch .LBB6_1836
.LBB6_1835:
	s_mov_b32 s0, -1
.LBB6_1836:
	s_delay_alu instid0(SALU_CYCLE_1)
	s_and_b32 vcc_lo, exec_lo, s0
	s_cbranch_vccz .LBB6_1864
; %bb.1837:
	v_readfirstlane_b32 s0, v29
	s_waitcnt vmcnt(0)
	v_mov_b32_e32 v8, 0
	v_mov_b32_e32 v9, 0
	s_delay_alu instid0(VALU_DEP_3) | instskip(NEXT) | instid1(VALU_DEP_1)
	v_cmp_eq_u32_e64 s0, s0, v29
	s_and_saveexec_b32 s1, s0
	s_cbranch_execz .LBB6_1843
; %bb.1838:
	v_mov_b32_e32 v2, 0
	s_mov_b32 s4, exec_lo
	global_load_b64 v[5:6], v2, s[2:3] offset:24 glc
	s_waitcnt vmcnt(0)
	buffer_gl1_inv
	buffer_gl0_inv
	s_clause 0x1
	global_load_b64 v[3:4], v2, s[2:3] offset:40
	global_load_b64 v[7:8], v2, s[2:3]
	s_waitcnt vmcnt(1)
	v_and_b32_e32 v3, v3, v5
	v_and_b32_e32 v4, v4, v6
	s_delay_alu instid0(VALU_DEP_2) | instskip(NEXT) | instid1(VALU_DEP_2)
	v_mul_hi_u32 v9, v3, 24
	v_mul_lo_u32 v4, v4, 24
	v_mul_lo_u32 v3, v3, 24
	s_delay_alu instid0(VALU_DEP_2) | instskip(SKIP_1) | instid1(VALU_DEP_2)
	v_add_nc_u32_e32 v4, v9, v4
	s_waitcnt vmcnt(0)
	v_add_co_u32 v3, vcc_lo, v7, v3
	s_delay_alu instid0(VALU_DEP_2)
	v_add_co_ci_u32_e32 v4, vcc_lo, v8, v4, vcc_lo
	global_load_b64 v[3:4], v[3:4], off glc
	s_waitcnt vmcnt(0)
	global_atomic_cmpswap_b64 v[8:9], v2, v[3:6], s[2:3] offset:24 glc
	s_waitcnt vmcnt(0)
	buffer_gl1_inv
	buffer_gl0_inv
	v_cmpx_ne_u64_e64 v[8:9], v[5:6]
	s_cbranch_execz .LBB6_1842
; %bb.1839:
	s_mov_b32 s5, 0
.LBB6_1840:                             ; =>This Inner Loop Header: Depth=1
	s_sleep 1
	s_clause 0x1
	global_load_b64 v[3:4], v2, s[2:3] offset:40
	global_load_b64 v[10:11], v2, s[2:3]
	v_dual_mov_b32 v5, v8 :: v_dual_mov_b32 v6, v9
	s_waitcnt vmcnt(1)
	s_delay_alu instid0(VALU_DEP_1) | instskip(NEXT) | instid1(VALU_DEP_2)
	v_and_b32_e32 v3, v3, v5
	v_and_b32_e32 v4, v4, v6
	s_waitcnt vmcnt(0)
	s_delay_alu instid0(VALU_DEP_2) | instskip(NEXT) | instid1(VALU_DEP_1)
	v_mad_u64_u32 v[7:8], null, v3, 24, v[10:11]
	v_mov_b32_e32 v3, v8
	s_delay_alu instid0(VALU_DEP_1)
	v_mad_u64_u32 v[8:9], null, v4, 24, v[3:4]
	global_load_b64 v[3:4], v[7:8], off glc
	s_waitcnt vmcnt(0)
	global_atomic_cmpswap_b64 v[8:9], v2, v[3:6], s[2:3] offset:24 glc
	s_waitcnt vmcnt(0)
	buffer_gl1_inv
	buffer_gl0_inv
	v_cmp_eq_u64_e32 vcc_lo, v[8:9], v[5:6]
	s_or_b32 s5, vcc_lo, s5
	s_delay_alu instid0(SALU_CYCLE_1)
	s_and_not1_b32 exec_lo, exec_lo, s5
	s_cbranch_execnz .LBB6_1840
; %bb.1841:
	s_or_b32 exec_lo, exec_lo, s5
.LBB6_1842:
	s_delay_alu instid0(SALU_CYCLE_1)
	s_or_b32 exec_lo, exec_lo, s4
.LBB6_1843:
	s_delay_alu instid0(SALU_CYCLE_1)
	s_or_b32 exec_lo, exec_lo, s1
	v_mov_b32_e32 v2, 0
	v_readfirstlane_b32 s4, v8
	v_readfirstlane_b32 s5, v9
	s_mov_b32 s1, exec_lo
	s_clause 0x1
	global_load_b64 v[10:11], v2, s[2:3] offset:40
	global_load_b128 v[4:7], v2, s[2:3]
	s_waitcnt vmcnt(1)
	v_readfirstlane_b32 s6, v10
	v_readfirstlane_b32 s7, v11
	s_delay_alu instid0(VALU_DEP_1) | instskip(NEXT) | instid1(SALU_CYCLE_1)
	s_and_b64 s[6:7], s[4:5], s[6:7]
	s_mul_i32 s8, s7, 24
	s_mul_hi_u32 s9, s6, 24
	s_mul_i32 s10, s6, 24
	s_add_i32 s9, s9, s8
	s_waitcnt vmcnt(0)
	v_add_co_u32 v8, vcc_lo, v4, s10
	v_add_co_ci_u32_e32 v9, vcc_lo, s9, v5, vcc_lo
	s_and_saveexec_b32 s8, s0
	s_cbranch_execz .LBB6_1845
; %bb.1844:
	v_dual_mov_b32 v10, s1 :: v_dual_mov_b32 v11, v2
	v_dual_mov_b32 v12, 2 :: v_dual_mov_b32 v13, 1
	global_store_b128 v[8:9], v[10:13], off offset:8
.LBB6_1845:
	s_or_b32 exec_lo, exec_lo, s8
	s_lshl_b64 s[6:7], s[6:7], 12
	s_mov_b32 s8, 0
	v_add_co_u32 v6, vcc_lo, v6, s6
	v_add_co_ci_u32_e32 v7, vcc_lo, s7, v7, vcc_lo
	s_mov_b32 s11, s8
	s_mov_b32 s9, s8
	;; [unrolled: 1-line block ×3, first 2 shown]
	v_and_or_b32 v0, 0xffffff1d, v0, 34
	v_mov_b32_e32 v3, v2
	v_readfirstlane_b32 s6, v6
	v_readfirstlane_b32 s7, v7
	v_dual_mov_b32 v13, s11 :: v_dual_mov_b32 v10, s8
	v_dual_mov_b32 v12, s10 :: v_dual_mov_b32 v11, s9
	s_clause 0x3
	global_store_b128 v28, v[0:3], s[6:7]
	global_store_b128 v28, v[10:13], s[6:7] offset:16
	global_store_b128 v28, v[10:13], s[6:7] offset:32
	;; [unrolled: 1-line block ×3, first 2 shown]
	s_and_saveexec_b32 s1, s0
	s_cbranch_execz .LBB6_1853
; %bb.1846:
	v_dual_mov_b32 v6, 0 :: v_dual_mov_b32 v11, s5
	v_mov_b32_e32 v10, s4
	s_clause 0x1
	global_load_b64 v[12:13], v6, s[2:3] offset:32 glc
	global_load_b64 v[0:1], v6, s[2:3] offset:40
	s_waitcnt vmcnt(0)
	v_readfirstlane_b32 s6, v0
	v_readfirstlane_b32 s7, v1
	s_delay_alu instid0(VALU_DEP_1) | instskip(NEXT) | instid1(SALU_CYCLE_1)
	s_and_b64 s[6:7], s[6:7], s[4:5]
	s_mul_i32 s7, s7, 24
	s_mul_hi_u32 s8, s6, 24
	s_mul_i32 s6, s6, 24
	s_add_i32 s8, s8, s7
	v_add_co_u32 v4, vcc_lo, v4, s6
	v_add_co_ci_u32_e32 v5, vcc_lo, s8, v5, vcc_lo
	s_mov_b32 s6, exec_lo
	global_store_b64 v[4:5], v[12:13], off
	s_waitcnt_vscnt null, 0x0
	global_atomic_cmpswap_b64 v[2:3], v6, v[10:13], s[2:3] offset:32 glc
	s_waitcnt vmcnt(0)
	v_cmpx_ne_u64_e64 v[2:3], v[12:13]
	s_cbranch_execz .LBB6_1849
; %bb.1847:
	s_mov_b32 s7, 0
.LBB6_1848:                             ; =>This Inner Loop Header: Depth=1
	v_dual_mov_b32 v0, s4 :: v_dual_mov_b32 v1, s5
	s_sleep 1
	global_store_b64 v[4:5], v[2:3], off
	s_waitcnt_vscnt null, 0x0
	global_atomic_cmpswap_b64 v[0:1], v6, v[0:3], s[2:3] offset:32 glc
	s_waitcnt vmcnt(0)
	v_cmp_eq_u64_e32 vcc_lo, v[0:1], v[2:3]
	v_dual_mov_b32 v3, v1 :: v_dual_mov_b32 v2, v0
	s_or_b32 s7, vcc_lo, s7
	s_delay_alu instid0(SALU_CYCLE_1)
	s_and_not1_b32 exec_lo, exec_lo, s7
	s_cbranch_execnz .LBB6_1848
.LBB6_1849:
	s_or_b32 exec_lo, exec_lo, s6
	v_mov_b32_e32 v3, 0
	s_mov_b32 s7, exec_lo
	s_mov_b32 s6, exec_lo
	v_mbcnt_lo_u32_b32 v2, s7, 0
	global_load_b64 v[0:1], v3, s[2:3] offset:16
	v_cmpx_eq_u32_e32 0, v2
	s_cbranch_execz .LBB6_1851
; %bb.1850:
	s_bcnt1_i32_b32 s7, s7
	s_delay_alu instid0(SALU_CYCLE_1)
	v_mov_b32_e32 v2, s7
	s_waitcnt vmcnt(0)
	global_atomic_add_u64 v[0:1], v[2:3], off offset:8
.LBB6_1851:
	s_or_b32 exec_lo, exec_lo, s6
	s_waitcnt vmcnt(0)
	global_load_b64 v[2:3], v[0:1], off offset:16
	s_waitcnt vmcnt(0)
	v_cmp_eq_u64_e32 vcc_lo, 0, v[2:3]
	s_cbranch_vccnz .LBB6_1853
; %bb.1852:
	global_load_b32 v0, v[0:1], off offset:24
	s_waitcnt vmcnt(0)
	v_dual_mov_b32 v1, 0 :: v_dual_and_b32 v4, 0xffffff, v0
	s_waitcnt_vscnt null, 0x0
	global_store_b64 v[2:3], v[0:1], off
	v_readfirstlane_b32 m0, v4
	s_sendmsg sendmsg(MSG_INTERRUPT)
.LBB6_1853:
	s_or_b32 exec_lo, exec_lo, s1
	s_branch .LBB6_1855
.LBB6_1854:
	s_branch .LBB6_1859
.LBB6_1855:                             ; =>This Inner Loop Header: Depth=1
	v_mov_b32_e32 v0, 1
	s_and_saveexec_b32 s1, s0
	s_cbranch_execz .LBB6_1857
; %bb.1856:                             ;   in Loop: Header=BB6_1855 Depth=1
	global_load_b32 v0, v[8:9], off offset:20 glc
	s_waitcnt vmcnt(0)
	buffer_gl1_inv
	buffer_gl0_inv
	v_and_b32_e32 v0, 1, v0
.LBB6_1857:                             ;   in Loop: Header=BB6_1855 Depth=1
	s_or_b32 exec_lo, exec_lo, s1
	s_delay_alu instid0(VALU_DEP_1) | instskip(NEXT) | instid1(VALU_DEP_1)
	v_readfirstlane_b32 s1, v0
	s_cmp_eq_u32 s1, 0
	s_cbranch_scc1 .LBB6_1854
; %bb.1858:                             ;   in Loop: Header=BB6_1855 Depth=1
	s_sleep 1
	s_cbranch_execnz .LBB6_1855
.LBB6_1859:
	s_and_saveexec_b32 s1, s0
	s_cbranch_execz .LBB6_1863
; %bb.1860:
	v_mov_b32_e32 v6, 0
	s_clause 0x2
	global_load_b64 v[2:3], v6, s[2:3] offset:40
	global_load_b64 v[7:8], v6, s[2:3] offset:24 glc
	global_load_b64 v[4:5], v6, s[2:3]
	s_waitcnt vmcnt(2)
	v_add_co_u32 v9, vcc_lo, v2, 1
	v_add_co_ci_u32_e32 v10, vcc_lo, 0, v3, vcc_lo
	s_delay_alu instid0(VALU_DEP_2) | instskip(NEXT) | instid1(VALU_DEP_2)
	v_add_co_u32 v0, vcc_lo, v9, s4
	v_add_co_ci_u32_e32 v1, vcc_lo, s5, v10, vcc_lo
	s_delay_alu instid0(VALU_DEP_1) | instskip(SKIP_1) | instid1(VALU_DEP_1)
	v_cmp_eq_u64_e32 vcc_lo, 0, v[0:1]
	v_dual_cndmask_b32 v1, v1, v10 :: v_dual_cndmask_b32 v0, v0, v9
	v_and_b32_e32 v3, v1, v3
	s_delay_alu instid0(VALU_DEP_2) | instskip(NEXT) | instid1(VALU_DEP_2)
	v_and_b32_e32 v2, v0, v2
	v_mul_lo_u32 v3, v3, 24
	s_delay_alu instid0(VALU_DEP_2) | instskip(SKIP_1) | instid1(VALU_DEP_2)
	v_mul_hi_u32 v9, v2, 24
	v_mul_lo_u32 v2, v2, 24
	v_add_nc_u32_e32 v3, v9, v3
	s_waitcnt vmcnt(0)
	s_delay_alu instid0(VALU_DEP_2) | instskip(SKIP_1) | instid1(VALU_DEP_3)
	v_add_co_u32 v4, vcc_lo, v4, v2
	v_mov_b32_e32 v2, v7
	v_add_co_ci_u32_e32 v5, vcc_lo, v5, v3, vcc_lo
	v_mov_b32_e32 v3, v8
	global_store_b64 v[4:5], v[7:8], off
	s_waitcnt_vscnt null, 0x0
	global_atomic_cmpswap_b64 v[2:3], v6, v[0:3], s[2:3] offset:24 glc
	s_waitcnt vmcnt(0)
	v_cmp_ne_u64_e32 vcc_lo, v[2:3], v[7:8]
	s_and_b32 exec_lo, exec_lo, vcc_lo
	s_cbranch_execz .LBB6_1863
; %bb.1861:
	s_mov_b32 s0, 0
.LBB6_1862:                             ; =>This Inner Loop Header: Depth=1
	s_sleep 1
	global_store_b64 v[4:5], v[2:3], off
	s_waitcnt_vscnt null, 0x0
	global_atomic_cmpswap_b64 v[7:8], v6, v[0:3], s[2:3] offset:24 glc
	s_waitcnt vmcnt(0)
	v_cmp_eq_u64_e32 vcc_lo, v[7:8], v[2:3]
	v_dual_mov_b32 v2, v7 :: v_dual_mov_b32 v3, v8
	s_or_b32 s0, vcc_lo, s0
	s_delay_alu instid0(SALU_CYCLE_1)
	s_and_not1_b32 exec_lo, exec_lo, s0
	s_cbranch_execnz .LBB6_1862
.LBB6_1863:
	s_or_b32 exec_lo, exec_lo, s1
.LBB6_1864:
	s_getpc_b64 s[0:1]
	s_add_u32 s0, s0, .str.29@rel32@lo+4
	s_addc_u32 s1, s1, .str.29@rel32@hi+12
	s_getpc_b64 s[2:3]
	s_add_u32 s2, s2, .str.19@rel32@lo+4
	s_addc_u32 s3, s3, .str.19@rel32@hi+12
	s_getpc_b64 s[4:5]
	s_add_u32 s4, s4, __PRETTY_FUNCTION__._ZN7VecsMemIjLi8192EE5fetchEi@rel32@lo+4
	s_addc_u32 s5, s5, __PRETTY_FUNCTION__._ZN7VecsMemIjLi8192EE5fetchEi@rel32@hi+12
	s_waitcnt vmcnt(0)
	v_dual_mov_b32 v0, s0 :: v_dual_mov_b32 v1, s1
	v_dual_mov_b32 v2, s2 :: v_dual_mov_b32 v3, s3
	;; [unrolled: 1-line block ×3, first 2 shown]
	v_mov_b32_e32 v6, s5
	s_mov_b64 s[8:9], s[44:45]
	s_getpc_b64 s[6:7]
	s_add_u32 s6, s6, __assert_fail@rel32@lo+4
	s_addc_u32 s7, s7, __assert_fail@rel32@hi+12
	s_delay_alu instid0(SALU_CYCLE_1)
	s_swappc_b64 s[30:31], s[6:7]
	s_or_b32 s19, s19, exec_lo
                                        ; implicit-def: $vgpr40
.LBB6_1865:
	s_or_b32 exec_lo, exec_lo, s17
	s_delay_alu instid0(SALU_CYCLE_1) | instskip(SKIP_1) | instid1(SALU_CYCLE_1)
	s_and_not1_b32 s0, s18, exec_lo
	s_and_b32 s1, s19, exec_lo
	s_or_b32 s17, s0, s1
.LBB6_1866:
	s_and_not1_saveexec_b32 s19, s24
	s_cbranch_execz .LBB6_1868
; %bb.1867:
	s_getpc_b64 s[0:1]
	s_add_u32 s0, s0, .str.38@rel32@lo+4
	s_addc_u32 s1, s1, .str.38@rel32@hi+12
	s_getpc_b64 s[2:3]
	s_add_u32 s2, s2, .str.31@rel32@lo+4
	s_addc_u32 s3, s3, .str.31@rel32@hi+12
	s_getpc_b64 s[4:5]
	s_add_u32 s4, s4, __PRETTY_FUNCTION__._ZN3sop17sopDivideInternalEPNS_3SopES1_S1_S1_P7VecsMemIjLi8192EE@rel32@lo+4
	s_addc_u32 s5, s5, __PRETTY_FUNCTION__._ZN3sop17sopDivideInternalEPNS_3SopES1_S1_S1_P7VecsMemIjLi8192EE@rel32@hi+12
	v_dual_mov_b32 v0, s0 :: v_dual_mov_b32 v1, s1
	v_dual_mov_b32 v2, s2 :: v_dual_mov_b32 v3, s3
	s_waitcnt vmcnt(0) lgkmcnt(0)
	v_dual_mov_b32 v4, 0x101 :: v_dual_mov_b32 v5, s4
	v_mov_b32_e32 v6, s5
	s_mov_b64 s[8:9], s[44:45]
	s_getpc_b64 s[6:7]
	s_add_u32 s6, s6, __assert_fail@rel32@lo+4
	s_addc_u32 s7, s7, __assert_fail@rel32@hi+12
	s_delay_alu instid0(SALU_CYCLE_1)
	s_swappc_b64 s[30:31], s[6:7]
	s_or_b32 s17, s17, exec_lo
                                        ; implicit-def: $vgpr40
.LBB6_1868:
	s_or_b32 exec_lo, exec_lo, s19
	s_delay_alu instid0(SALU_CYCLE_1) | instskip(SKIP_1) | instid1(SALU_CYCLE_1)
	s_and_not1_b32 s0, s18, exec_lo
	s_and_b32 s1, s17, exec_lo
	s_or_b32 s18, s0, s1
.LBB6_1869:
	s_or_b32 exec_lo, exec_lo, s23
	s_delay_alu instid0(SALU_CYCLE_1) | instskip(SKIP_1) | instid1(SALU_CYCLE_1)
	s_and_not1_b32 s0, s46, exec_lo
	s_and_b32 s1, s18, exec_lo
	s_or_b32 s17, s0, s1
.LBB6_1870:
	s_and_not1_saveexec_b32 s18, s22
	s_cbranch_execz .LBB6_2005
; %bb.1871:
	s_load_b64 s[2:3], s[44:45], 0x50
	v_mbcnt_lo_u32_b32 v29, -1, 0
	v_mov_b32_e32 v6, 0
	v_mov_b32_e32 v7, 0
	s_delay_alu instid0(VALU_DEP_3) | instskip(NEXT) | instid1(VALU_DEP_1)
	v_readfirstlane_b32 s0, v29
	v_cmp_eq_u32_e64 s0, s0, v29
	s_delay_alu instid0(VALU_DEP_1)
	s_and_saveexec_b32 s1, s0
	s_cbranch_execz .LBB6_1877
; %bb.1872:
	v_mov_b32_e32 v0, 0
	s_mov_b32 s4, exec_lo
	s_waitcnt lgkmcnt(0)
	global_load_b64 v[3:4], v0, s[2:3] offset:24 glc
	s_waitcnt vmcnt(0)
	buffer_gl1_inv
	buffer_gl0_inv
	s_clause 0x1
	global_load_b64 v[1:2], v0, s[2:3] offset:40
	global_load_b64 v[5:6], v0, s[2:3]
	s_waitcnt vmcnt(1)
	v_and_b32_e32 v1, v1, v3
	v_and_b32_e32 v2, v2, v4
	s_delay_alu instid0(VALU_DEP_2) | instskip(NEXT) | instid1(VALU_DEP_2)
	v_mul_hi_u32 v7, v1, 24
	v_mul_lo_u32 v2, v2, 24
	v_mul_lo_u32 v1, v1, 24
	s_delay_alu instid0(VALU_DEP_2) | instskip(SKIP_1) | instid1(VALU_DEP_2)
	v_add_nc_u32_e32 v2, v7, v2
	s_waitcnt vmcnt(0)
	v_add_co_u32 v1, vcc_lo, v5, v1
	s_delay_alu instid0(VALU_DEP_2)
	v_add_co_ci_u32_e32 v2, vcc_lo, v6, v2, vcc_lo
	global_load_b64 v[1:2], v[1:2], off glc
	s_waitcnt vmcnt(0)
	global_atomic_cmpswap_b64 v[6:7], v0, v[1:4], s[2:3] offset:24 glc
	s_waitcnt vmcnt(0)
	buffer_gl1_inv
	buffer_gl0_inv
	v_cmpx_ne_u64_e64 v[6:7], v[3:4]
	s_cbranch_execz .LBB6_1876
; %bb.1873:
	s_mov_b32 s5, 0
	.p2align	6
.LBB6_1874:                             ; =>This Inner Loop Header: Depth=1
	s_sleep 1
	s_clause 0x1
	global_load_b64 v[1:2], v0, s[2:3] offset:40
	global_load_b64 v[8:9], v0, s[2:3]
	v_dual_mov_b32 v3, v6 :: v_dual_mov_b32 v4, v7
	s_waitcnt vmcnt(1)
	s_delay_alu instid0(VALU_DEP_1) | instskip(NEXT) | instid1(VALU_DEP_2)
	v_and_b32_e32 v1, v1, v3
	v_and_b32_e32 v2, v2, v4
	s_waitcnt vmcnt(0)
	s_delay_alu instid0(VALU_DEP_2) | instskip(NEXT) | instid1(VALU_DEP_1)
	v_mad_u64_u32 v[5:6], null, v1, 24, v[8:9]
	v_mov_b32_e32 v1, v6
	s_delay_alu instid0(VALU_DEP_1)
	v_mad_u64_u32 v[6:7], null, v2, 24, v[1:2]
	global_load_b64 v[1:2], v[5:6], off glc
	s_waitcnt vmcnt(0)
	global_atomic_cmpswap_b64 v[6:7], v0, v[1:4], s[2:3] offset:24 glc
	s_waitcnt vmcnt(0)
	buffer_gl1_inv
	buffer_gl0_inv
	v_cmp_eq_u64_e32 vcc_lo, v[6:7], v[3:4]
	s_or_b32 s5, vcc_lo, s5
	s_delay_alu instid0(SALU_CYCLE_1)
	s_and_not1_b32 exec_lo, exec_lo, s5
	s_cbranch_execnz .LBB6_1874
; %bb.1875:
	s_or_b32 exec_lo, exec_lo, s5
.LBB6_1876:
	s_delay_alu instid0(SALU_CYCLE_1)
	s_or_b32 exec_lo, exec_lo, s4
.LBB6_1877:
	s_delay_alu instid0(SALU_CYCLE_1)
	s_or_b32 exec_lo, exec_lo, s1
	v_mov_b32_e32 v5, 0
	v_readfirstlane_b32 s4, v6
	v_readfirstlane_b32 s5, v7
	s_mov_b32 s1, exec_lo
	s_waitcnt lgkmcnt(0)
	s_clause 0x1
	global_load_b64 v[8:9], v5, s[2:3] offset:40
	global_load_b128 v[0:3], v5, s[2:3]
	s_waitcnt vmcnt(1)
	v_readfirstlane_b32 s6, v8
	v_readfirstlane_b32 s7, v9
	s_delay_alu instid0(VALU_DEP_1) | instskip(NEXT) | instid1(SALU_CYCLE_1)
	s_and_b64 s[6:7], s[4:5], s[6:7]
	s_mul_i32 s8, s7, 24
	s_mul_hi_u32 s9, s6, 24
	s_mul_i32 s10, s6, 24
	s_add_i32 s9, s9, s8
	s_waitcnt vmcnt(0)
	v_add_co_u32 v8, vcc_lo, v0, s10
	v_add_co_ci_u32_e32 v9, vcc_lo, s9, v1, vcc_lo
	s_and_saveexec_b32 s8, s0
	s_cbranch_execz .LBB6_1879
; %bb.1878:
	v_dual_mov_b32 v4, s1 :: v_dual_mov_b32 v7, 1
	v_mov_b32_e32 v6, 2
	global_store_b128 v[8:9], v[4:7], off offset:8
.LBB6_1879:
	s_or_b32 exec_lo, exec_lo, s8
	s_lshl_b64 s[6:7], s[6:7], 12
	v_dual_mov_b32 v7, v5 :: v_dual_lshlrev_b32 v28, 6, v29
	v_add_co_u32 v2, vcc_lo, v2, s6
	v_add_co_ci_u32_e32 v3, vcc_lo, s7, v3, vcc_lo
	s_mov_b32 s8, 0
	s_delay_alu instid0(VALU_DEP_2)
	v_add_co_u32 v10, vcc_lo, v2, v28
	s_mov_b32 s11, s8
	s_mov_b32 s9, s8
	;; [unrolled: 1-line block ×3, first 2 shown]
	v_dual_mov_b32 v4, 33 :: v_dual_mov_b32 v15, s11
	v_dual_mov_b32 v6, v5 :: v_dual_mov_b32 v13, s9
	v_readfirstlane_b32 s6, v2
	v_readfirstlane_b32 s7, v3
	v_add_co_ci_u32_e32 v11, vcc_lo, 0, v3, vcc_lo
	v_mov_b32_e32 v14, s10
	v_mov_b32_e32 v12, s8
	s_clause 0x3
	global_store_b128 v28, v[4:7], s[6:7]
	global_store_b128 v28, v[12:15], s[6:7] offset:16
	global_store_b128 v28, v[12:15], s[6:7] offset:32
	;; [unrolled: 1-line block ×3, first 2 shown]
	s_and_saveexec_b32 s1, s0
	s_cbranch_execz .LBB6_1887
; %bb.1880:
	v_mov_b32_e32 v6, 0
	s_mov_b32 s6, exec_lo
	s_clause 0x1
	global_load_b64 v[14:15], v6, s[2:3] offset:32 glc
	global_load_b64 v[2:3], v6, s[2:3] offset:40
	v_dual_mov_b32 v13, s5 :: v_dual_mov_b32 v12, s4
	s_waitcnt vmcnt(0)
	v_and_b32_e32 v3, s5, v3
	v_and_b32_e32 v2, s4, v2
	s_delay_alu instid0(VALU_DEP_2) | instskip(NEXT) | instid1(VALU_DEP_2)
	v_mul_lo_u32 v3, v3, 24
	v_mul_hi_u32 v4, v2, 24
	v_mul_lo_u32 v2, v2, 24
	s_delay_alu instid0(VALU_DEP_2) | instskip(NEXT) | instid1(VALU_DEP_2)
	v_add_nc_u32_e32 v3, v4, v3
	v_add_co_u32 v4, vcc_lo, v0, v2
	s_delay_alu instid0(VALU_DEP_2)
	v_add_co_ci_u32_e32 v5, vcc_lo, v1, v3, vcc_lo
	global_store_b64 v[4:5], v[14:15], off
	s_waitcnt_vscnt null, 0x0
	global_atomic_cmpswap_b64 v[2:3], v6, v[12:15], s[2:3] offset:32 glc
	s_waitcnt vmcnt(0)
	v_cmpx_ne_u64_e64 v[2:3], v[14:15]
	s_cbranch_execz .LBB6_1883
; %bb.1881:
	s_mov_b32 s7, 0
.LBB6_1882:                             ; =>This Inner Loop Header: Depth=1
	v_dual_mov_b32 v0, s4 :: v_dual_mov_b32 v1, s5
	s_sleep 1
	global_store_b64 v[4:5], v[2:3], off
	s_waitcnt_vscnt null, 0x0
	global_atomic_cmpswap_b64 v[0:1], v6, v[0:3], s[2:3] offset:32 glc
	s_waitcnt vmcnt(0)
	v_cmp_eq_u64_e32 vcc_lo, v[0:1], v[2:3]
	v_dual_mov_b32 v3, v1 :: v_dual_mov_b32 v2, v0
	s_or_b32 s7, vcc_lo, s7
	s_delay_alu instid0(SALU_CYCLE_1)
	s_and_not1_b32 exec_lo, exec_lo, s7
	s_cbranch_execnz .LBB6_1882
.LBB6_1883:
	s_or_b32 exec_lo, exec_lo, s6
	v_mov_b32_e32 v3, 0
	s_mov_b32 s7, exec_lo
	s_mov_b32 s6, exec_lo
	v_mbcnt_lo_u32_b32 v2, s7, 0
	global_load_b64 v[0:1], v3, s[2:3] offset:16
	v_cmpx_eq_u32_e32 0, v2
	s_cbranch_execz .LBB6_1885
; %bb.1884:
	s_bcnt1_i32_b32 s7, s7
	s_delay_alu instid0(SALU_CYCLE_1)
	v_mov_b32_e32 v2, s7
	s_waitcnt vmcnt(0)
	global_atomic_add_u64 v[0:1], v[2:3], off offset:8
.LBB6_1885:
	s_or_b32 exec_lo, exec_lo, s6
	s_waitcnt vmcnt(0)
	global_load_b64 v[2:3], v[0:1], off offset:16
	s_waitcnt vmcnt(0)
	v_cmp_eq_u64_e32 vcc_lo, 0, v[2:3]
	s_cbranch_vccnz .LBB6_1887
; %bb.1886:
	global_load_b32 v0, v[0:1], off offset:24
	s_waitcnt vmcnt(0)
	v_dual_mov_b32 v1, 0 :: v_dual_and_b32 v4, 0xffffff, v0
	s_waitcnt_vscnt null, 0x0
	global_store_b64 v[2:3], v[0:1], off
	v_readfirstlane_b32 m0, v4
	s_sendmsg sendmsg(MSG_INTERRUPT)
.LBB6_1887:
	s_or_b32 exec_lo, exec_lo, s1
	s_branch .LBB6_1889
	.p2align	6
.LBB6_1888:
	s_branch .LBB6_1893
.LBB6_1889:                             ; =>This Inner Loop Header: Depth=1
	v_mov_b32_e32 v0, 1
	s_and_saveexec_b32 s1, s0
	s_cbranch_execz .LBB6_1891
; %bb.1890:                             ;   in Loop: Header=BB6_1889 Depth=1
	global_load_b32 v0, v[8:9], off offset:20 glc
	s_waitcnt vmcnt(0)
	buffer_gl1_inv
	buffer_gl0_inv
	v_and_b32_e32 v0, 1, v0
.LBB6_1891:                             ;   in Loop: Header=BB6_1889 Depth=1
	s_or_b32 exec_lo, exec_lo, s1
	s_delay_alu instid0(VALU_DEP_1) | instskip(NEXT) | instid1(VALU_DEP_1)
	v_readfirstlane_b32 s1, v0
	s_cmp_eq_u32 s1, 0
	s_cbranch_scc1 .LBB6_1888
; %bb.1892:                             ;   in Loop: Header=BB6_1889 Depth=1
	s_sleep 1
	s_cbranch_execnz .LBB6_1889
.LBB6_1893:
	global_load_b64 v[0:1], v[10:11], off
	s_and_saveexec_b32 s1, s0
	s_cbranch_execz .LBB6_1897
; %bb.1894:
	v_mov_b32_e32 v8, 0
	s_clause 0x2
	global_load_b64 v[4:5], v8, s[2:3] offset:40
	global_load_b64 v[9:10], v8, s[2:3] offset:24 glc
	global_load_b64 v[6:7], v8, s[2:3]
	s_waitcnt vmcnt(2)
	v_add_co_u32 v11, vcc_lo, v4, 1
	v_add_co_ci_u32_e32 v12, vcc_lo, 0, v5, vcc_lo
	s_delay_alu instid0(VALU_DEP_2) | instskip(NEXT) | instid1(VALU_DEP_2)
	v_add_co_u32 v2, vcc_lo, v11, s4
	v_add_co_ci_u32_e32 v3, vcc_lo, s5, v12, vcc_lo
	s_delay_alu instid0(VALU_DEP_1) | instskip(SKIP_1) | instid1(VALU_DEP_1)
	v_cmp_eq_u64_e32 vcc_lo, 0, v[2:3]
	v_dual_cndmask_b32 v3, v3, v12 :: v_dual_cndmask_b32 v2, v2, v11
	v_and_b32_e32 v5, v3, v5
	s_delay_alu instid0(VALU_DEP_2) | instskip(NEXT) | instid1(VALU_DEP_2)
	v_and_b32_e32 v4, v2, v4
	v_mul_lo_u32 v5, v5, 24
	s_delay_alu instid0(VALU_DEP_2) | instskip(SKIP_1) | instid1(VALU_DEP_2)
	v_mul_hi_u32 v11, v4, 24
	v_mul_lo_u32 v4, v4, 24
	v_add_nc_u32_e32 v5, v11, v5
	s_waitcnt vmcnt(0)
	s_delay_alu instid0(VALU_DEP_2) | instskip(SKIP_1) | instid1(VALU_DEP_3)
	v_add_co_u32 v6, vcc_lo, v6, v4
	v_mov_b32_e32 v4, v9
	v_add_co_ci_u32_e32 v7, vcc_lo, v7, v5, vcc_lo
	v_mov_b32_e32 v5, v10
	global_store_b64 v[6:7], v[9:10], off
	s_waitcnt_vscnt null, 0x0
	global_atomic_cmpswap_b64 v[4:5], v8, v[2:5], s[2:3] offset:24 glc
	s_waitcnt vmcnt(0)
	v_cmp_ne_u64_e32 vcc_lo, v[4:5], v[9:10]
	s_and_b32 exec_lo, exec_lo, vcc_lo
	s_cbranch_execz .LBB6_1897
; %bb.1895:
	s_mov_b32 s0, 0
.LBB6_1896:                             ; =>This Inner Loop Header: Depth=1
	s_sleep 1
	global_store_b64 v[6:7], v[4:5], off
	s_waitcnt_vscnt null, 0x0
	global_atomic_cmpswap_b64 v[9:10], v8, v[2:5], s[2:3] offset:24 glc
	s_waitcnt vmcnt(0)
	v_cmp_eq_u64_e32 vcc_lo, v[9:10], v[4:5]
	v_dual_mov_b32 v4, v9 :: v_dual_mov_b32 v5, v10
	s_or_b32 s0, vcc_lo, s0
	s_delay_alu instid0(SALU_CYCLE_1)
	s_and_not1_b32 exec_lo, exec_lo, s0
	s_cbranch_execnz .LBB6_1896
.LBB6_1897:
	s_or_b32 exec_lo, exec_lo, s1
	s_getpc_b64 s[4:5]
	s_add_u32 s4, s4, .str.28@rel32@lo+4
	s_addc_u32 s5, s5, .str.28@rel32@hi+12
	s_delay_alu instid0(SALU_CYCLE_1)
	s_cmp_lg_u64 s[4:5], 0
	s_cbranch_scc0 .LBB6_1976
; %bb.1898:
	s_waitcnt vmcnt(0)
	v_dual_mov_b32 v7, v1 :: v_dual_and_b32 v6, -3, v0
	v_dual_mov_b32 v3, 0 :: v_dual_mov_b32 v4, 2
	v_mov_b32_e32 v5, 1
	s_mov_b64 s[6:7], 35
	s_branch .LBB6_1900
.LBB6_1899:                             ;   in Loop: Header=BB6_1900 Depth=1
	s_or_b32 exec_lo, exec_lo, s1
	s_sub_u32 s6, s6, s8
	s_subb_u32 s7, s7, s9
	s_add_u32 s4, s4, s8
	s_addc_u32 s5, s5, s9
	s_cmp_lg_u64 s[6:7], 0
	s_cbranch_scc0 .LBB6_1975
.LBB6_1900:                             ; =>This Loop Header: Depth=1
                                        ;     Child Loop BB6_1903 Depth 2
                                        ;     Child Loop BB6_1908 Depth 2
	;; [unrolled: 1-line block ×11, first 2 shown]
	v_cmp_lt_u64_e64 s0, s[6:7], 56
	v_cmp_gt_u64_e64 s1, s[6:7], 7
                                        ; implicit-def: $sgpr14
	s_delay_alu instid0(VALU_DEP_2) | instskip(SKIP_2) | instid1(VALU_DEP_1)
	s_and_b32 s0, s0, exec_lo
	s_cselect_b32 s9, s7, 0
	s_cselect_b32 s8, s6, 56
	s_and_b32 vcc_lo, exec_lo, s1
	s_mov_b32 s0, -1
	s_cbranch_vccnz .LBB6_1910
; %bb.1901:                             ;   in Loop: Header=BB6_1900 Depth=1
	s_waitcnt vmcnt(0)
	v_mov_b32_e32 v8, 0
	v_mov_b32_e32 v9, 0
	s_cmp_eq_u64 s[6:7], 0
	s_mov_b64 s[0:1], 0
	s_cbranch_scc1 .LBB6_1904
; %bb.1902:                             ;   in Loop: Header=BB6_1900 Depth=1
	v_mov_b32_e32 v8, 0
	v_mov_b32_e32 v9, 0
	s_lshl_b64 s[10:11], s[8:9], 3
	s_mov_b64 s[12:13], s[4:5]
.LBB6_1903:                             ;   Parent Loop BB6_1900 Depth=1
                                        ; =>  This Inner Loop Header: Depth=2
	global_load_u8 v2, v3, s[12:13]
	s_waitcnt vmcnt(0)
	v_and_b32_e32 v2, 0xffff, v2
	s_delay_alu instid0(VALU_DEP_1)
	v_lshlrev_b64 v[10:11], s0, v[2:3]
	s_add_u32 s0, s0, 8
	s_addc_u32 s1, s1, 0
	s_add_u32 s12, s12, 1
	s_addc_u32 s13, s13, 0
	s_cmp_lg_u32 s10, s0
	v_or_b32_e32 v8, v10, v8
	v_or_b32_e32 v9, v11, v9
	s_cbranch_scc1 .LBB6_1903
.LBB6_1904:                             ;   in Loop: Header=BB6_1900 Depth=1
	s_mov_b32 s14, 0
	s_mov_b64 s[0:1], s[4:5]
	s_cbranch_execz .LBB6_1911
.LBB6_1905:                             ;   in Loop: Header=BB6_1900 Depth=1
	s_cmp_gt_u32 s14, 7
	s_cbranch_scc1 .LBB6_1912
.LBB6_1906:                             ;   in Loop: Header=BB6_1900 Depth=1
	v_mov_b32_e32 v10, 0
	v_mov_b32_e32 v11, 0
	s_cmp_eq_u32 s14, 0
	s_cbranch_scc1 .LBB6_1909
; %bb.1907:                             ;   in Loop: Header=BB6_1900 Depth=1
	s_mov_b64 s[10:11], 0
	s_mov_b64 s[12:13], 0
.LBB6_1908:                             ;   Parent Loop BB6_1900 Depth=1
                                        ; =>  This Inner Loop Header: Depth=2
	s_delay_alu instid0(SALU_CYCLE_1)
	s_add_u32 s22, s0, s12
	s_addc_u32 s23, s1, s13
	s_add_u32 s12, s12, 1
	global_load_u8 v2, v3, s[22:23]
	s_addc_u32 s13, s13, 0
	s_waitcnt vmcnt(0)
	v_and_b32_e32 v2, 0xffff, v2
	s_delay_alu instid0(VALU_DEP_1) | instskip(SKIP_3) | instid1(VALU_DEP_1)
	v_lshlrev_b64 v[12:13], s10, v[2:3]
	s_add_u32 s10, s10, 8
	s_addc_u32 s11, s11, 0
	s_cmp_lg_u32 s14, s12
	v_or_b32_e32 v10, v12, v10
	s_delay_alu instid0(VALU_DEP_2)
	v_or_b32_e32 v11, v13, v11
	s_cbranch_scc1 .LBB6_1908
.LBB6_1909:                             ;   in Loop: Header=BB6_1900 Depth=1
	s_mov_b32 s15, 0
	s_cbranch_execz .LBB6_1913
	s_branch .LBB6_1914
.LBB6_1910:                             ;   in Loop: Header=BB6_1900 Depth=1
	s_and_not1_b32 vcc_lo, exec_lo, s0
	s_mov_b64 s[0:1], s[4:5]
	s_cbranch_vccnz .LBB6_1905
.LBB6_1911:                             ;   in Loop: Header=BB6_1900 Depth=1
	global_load_b64 v[8:9], v3, s[4:5]
	s_add_i32 s14, s8, -8
	s_add_u32 s0, s4, 8
	s_addc_u32 s1, s5, 0
	s_cmp_gt_u32 s14, 7
	s_cbranch_scc0 .LBB6_1906
.LBB6_1912:                             ;   in Loop: Header=BB6_1900 Depth=1
                                        ; implicit-def: $vgpr10_vgpr11
                                        ; implicit-def: $sgpr15
.LBB6_1913:                             ;   in Loop: Header=BB6_1900 Depth=1
	global_load_b64 v[10:11], v3, s[0:1]
	s_add_i32 s15, s14, -8
	s_add_u32 s0, s0, 8
	s_addc_u32 s1, s1, 0
.LBB6_1914:                             ;   in Loop: Header=BB6_1900 Depth=1
	s_cmp_gt_u32 s15, 7
	s_cbranch_scc1 .LBB6_1919
; %bb.1915:                             ;   in Loop: Header=BB6_1900 Depth=1
	v_mov_b32_e32 v12, 0
	v_mov_b32_e32 v13, 0
	s_cmp_eq_u32 s15, 0
	s_cbranch_scc1 .LBB6_1918
; %bb.1916:                             ;   in Loop: Header=BB6_1900 Depth=1
	s_mov_b64 s[10:11], 0
	s_mov_b64 s[12:13], 0
.LBB6_1917:                             ;   Parent Loop BB6_1900 Depth=1
                                        ; =>  This Inner Loop Header: Depth=2
	s_delay_alu instid0(SALU_CYCLE_1)
	s_add_u32 s22, s0, s12
	s_addc_u32 s23, s1, s13
	s_add_u32 s12, s12, 1
	global_load_u8 v2, v3, s[22:23]
	s_addc_u32 s13, s13, 0
	s_waitcnt vmcnt(0)
	v_and_b32_e32 v2, 0xffff, v2
	s_delay_alu instid0(VALU_DEP_1) | instskip(SKIP_3) | instid1(VALU_DEP_1)
	v_lshlrev_b64 v[14:15], s10, v[2:3]
	s_add_u32 s10, s10, 8
	s_addc_u32 s11, s11, 0
	s_cmp_lg_u32 s15, s12
	v_or_b32_e32 v12, v14, v12
	s_delay_alu instid0(VALU_DEP_2)
	v_or_b32_e32 v13, v15, v13
	s_cbranch_scc1 .LBB6_1917
.LBB6_1918:                             ;   in Loop: Header=BB6_1900 Depth=1
	s_mov_b32 s14, 0
	s_cbranch_execz .LBB6_1920
	s_branch .LBB6_1921
.LBB6_1919:                             ;   in Loop: Header=BB6_1900 Depth=1
                                        ; implicit-def: $sgpr14
.LBB6_1920:                             ;   in Loop: Header=BB6_1900 Depth=1
	global_load_b64 v[12:13], v3, s[0:1]
	s_add_i32 s14, s15, -8
	s_add_u32 s0, s0, 8
	s_addc_u32 s1, s1, 0
.LBB6_1921:                             ;   in Loop: Header=BB6_1900 Depth=1
	s_cmp_gt_u32 s14, 7
	s_cbranch_scc1 .LBB6_1926
; %bb.1922:                             ;   in Loop: Header=BB6_1900 Depth=1
	v_mov_b32_e32 v14, 0
	v_mov_b32_e32 v15, 0
	s_cmp_eq_u32 s14, 0
	s_cbranch_scc1 .LBB6_1925
; %bb.1923:                             ;   in Loop: Header=BB6_1900 Depth=1
	s_mov_b64 s[10:11], 0
	s_mov_b64 s[12:13], 0
.LBB6_1924:                             ;   Parent Loop BB6_1900 Depth=1
                                        ; =>  This Inner Loop Header: Depth=2
	s_delay_alu instid0(SALU_CYCLE_1)
	s_add_u32 s22, s0, s12
	s_addc_u32 s23, s1, s13
	s_add_u32 s12, s12, 1
	global_load_u8 v2, v3, s[22:23]
	s_addc_u32 s13, s13, 0
	s_waitcnt vmcnt(0)
	v_and_b32_e32 v2, 0xffff, v2
	s_delay_alu instid0(VALU_DEP_1) | instskip(SKIP_3) | instid1(VALU_DEP_1)
	v_lshlrev_b64 v[16:17], s10, v[2:3]
	s_add_u32 s10, s10, 8
	s_addc_u32 s11, s11, 0
	s_cmp_lg_u32 s14, s12
	v_or_b32_e32 v14, v16, v14
	s_delay_alu instid0(VALU_DEP_2)
	v_or_b32_e32 v15, v17, v15
	s_cbranch_scc1 .LBB6_1924
.LBB6_1925:                             ;   in Loop: Header=BB6_1900 Depth=1
	s_mov_b32 s15, 0
	s_cbranch_execz .LBB6_1927
	s_branch .LBB6_1928
.LBB6_1926:                             ;   in Loop: Header=BB6_1900 Depth=1
                                        ; implicit-def: $vgpr14_vgpr15
                                        ; implicit-def: $sgpr15
.LBB6_1927:                             ;   in Loop: Header=BB6_1900 Depth=1
	global_load_b64 v[14:15], v3, s[0:1]
	s_add_i32 s15, s14, -8
	s_add_u32 s0, s0, 8
	s_addc_u32 s1, s1, 0
.LBB6_1928:                             ;   in Loop: Header=BB6_1900 Depth=1
	s_cmp_gt_u32 s15, 7
	s_cbranch_scc1 .LBB6_1933
; %bb.1929:                             ;   in Loop: Header=BB6_1900 Depth=1
	v_mov_b32_e32 v16, 0
	v_mov_b32_e32 v17, 0
	s_cmp_eq_u32 s15, 0
	s_cbranch_scc1 .LBB6_1932
; %bb.1930:                             ;   in Loop: Header=BB6_1900 Depth=1
	s_mov_b64 s[10:11], 0
	s_mov_b64 s[12:13], 0
.LBB6_1931:                             ;   Parent Loop BB6_1900 Depth=1
                                        ; =>  This Inner Loop Header: Depth=2
	s_delay_alu instid0(SALU_CYCLE_1)
	s_add_u32 s22, s0, s12
	s_addc_u32 s23, s1, s13
	s_add_u32 s12, s12, 1
	global_load_u8 v2, v3, s[22:23]
	s_addc_u32 s13, s13, 0
	s_waitcnt vmcnt(0)
	v_and_b32_e32 v2, 0xffff, v2
	s_delay_alu instid0(VALU_DEP_1) | instskip(SKIP_3) | instid1(VALU_DEP_1)
	v_lshlrev_b64 v[18:19], s10, v[2:3]
	s_add_u32 s10, s10, 8
	s_addc_u32 s11, s11, 0
	s_cmp_lg_u32 s15, s12
	v_or_b32_e32 v16, v18, v16
	s_delay_alu instid0(VALU_DEP_2)
	v_or_b32_e32 v17, v19, v17
	s_cbranch_scc1 .LBB6_1931
.LBB6_1932:                             ;   in Loop: Header=BB6_1900 Depth=1
	s_mov_b32 s14, 0
	s_cbranch_execz .LBB6_1934
	s_branch .LBB6_1935
.LBB6_1933:                             ;   in Loop: Header=BB6_1900 Depth=1
                                        ; implicit-def: $sgpr14
.LBB6_1934:                             ;   in Loop: Header=BB6_1900 Depth=1
	global_load_b64 v[16:17], v3, s[0:1]
	s_add_i32 s14, s15, -8
	s_add_u32 s0, s0, 8
	s_addc_u32 s1, s1, 0
.LBB6_1935:                             ;   in Loop: Header=BB6_1900 Depth=1
	s_cmp_gt_u32 s14, 7
	s_cbranch_scc1 .LBB6_1940
; %bb.1936:                             ;   in Loop: Header=BB6_1900 Depth=1
	v_mov_b32_e32 v18, 0
	v_mov_b32_e32 v19, 0
	s_cmp_eq_u32 s14, 0
	s_cbranch_scc1 .LBB6_1939
; %bb.1937:                             ;   in Loop: Header=BB6_1900 Depth=1
	s_mov_b64 s[10:11], 0
	s_mov_b64 s[12:13], 0
.LBB6_1938:                             ;   Parent Loop BB6_1900 Depth=1
                                        ; =>  This Inner Loop Header: Depth=2
	s_delay_alu instid0(SALU_CYCLE_1)
	s_add_u32 s22, s0, s12
	s_addc_u32 s23, s1, s13
	s_add_u32 s12, s12, 1
	global_load_u8 v2, v3, s[22:23]
	s_addc_u32 s13, s13, 0
	s_waitcnt vmcnt(0)
	v_and_b32_e32 v2, 0xffff, v2
	s_delay_alu instid0(VALU_DEP_1) | instskip(SKIP_3) | instid1(VALU_DEP_1)
	v_lshlrev_b64 v[20:21], s10, v[2:3]
	s_add_u32 s10, s10, 8
	s_addc_u32 s11, s11, 0
	s_cmp_lg_u32 s14, s12
	v_or_b32_e32 v18, v20, v18
	s_delay_alu instid0(VALU_DEP_2)
	v_or_b32_e32 v19, v21, v19
	s_cbranch_scc1 .LBB6_1938
.LBB6_1939:                             ;   in Loop: Header=BB6_1900 Depth=1
	s_mov_b32 s15, 0
	s_cbranch_execz .LBB6_1941
	s_branch .LBB6_1942
.LBB6_1940:                             ;   in Loop: Header=BB6_1900 Depth=1
                                        ; implicit-def: $vgpr18_vgpr19
                                        ; implicit-def: $sgpr15
.LBB6_1941:                             ;   in Loop: Header=BB6_1900 Depth=1
	global_load_b64 v[18:19], v3, s[0:1]
	s_add_i32 s15, s14, -8
	s_add_u32 s0, s0, 8
	s_addc_u32 s1, s1, 0
.LBB6_1942:                             ;   in Loop: Header=BB6_1900 Depth=1
	s_cmp_gt_u32 s15, 7
	s_cbranch_scc1 .LBB6_1947
; %bb.1943:                             ;   in Loop: Header=BB6_1900 Depth=1
	v_mov_b32_e32 v20, 0
	v_mov_b32_e32 v21, 0
	s_cmp_eq_u32 s15, 0
	s_cbranch_scc1 .LBB6_1946
; %bb.1944:                             ;   in Loop: Header=BB6_1900 Depth=1
	s_mov_b64 s[10:11], 0
	s_mov_b64 s[12:13], s[0:1]
.LBB6_1945:                             ;   Parent Loop BB6_1900 Depth=1
                                        ; =>  This Inner Loop Header: Depth=2
	global_load_u8 v2, v3, s[12:13]
	s_add_i32 s15, s15, -1
	s_waitcnt vmcnt(0)
	v_and_b32_e32 v2, 0xffff, v2
	s_delay_alu instid0(VALU_DEP_1)
	v_lshlrev_b64 v[22:23], s10, v[2:3]
	s_add_u32 s10, s10, 8
	s_addc_u32 s11, s11, 0
	s_add_u32 s12, s12, 1
	s_addc_u32 s13, s13, 0
	s_cmp_lg_u32 s15, 0
	v_or_b32_e32 v20, v22, v20
	v_or_b32_e32 v21, v23, v21
	s_cbranch_scc1 .LBB6_1945
.LBB6_1946:                             ;   in Loop: Header=BB6_1900 Depth=1
	s_cbranch_execz .LBB6_1948
	s_branch .LBB6_1949
.LBB6_1947:                             ;   in Loop: Header=BB6_1900 Depth=1
.LBB6_1948:                             ;   in Loop: Header=BB6_1900 Depth=1
	global_load_b64 v[20:21], v3, s[0:1]
.LBB6_1949:                             ;   in Loop: Header=BB6_1900 Depth=1
	v_readfirstlane_b32 s0, v29
	v_mov_b32_e32 v26, 0
	v_mov_b32_e32 v27, 0
	s_delay_alu instid0(VALU_DEP_3) | instskip(NEXT) | instid1(VALU_DEP_1)
	v_cmp_eq_u32_e64 s0, s0, v29
	s_and_saveexec_b32 s1, s0
	s_cbranch_execz .LBB6_1955
; %bb.1950:                             ;   in Loop: Header=BB6_1900 Depth=1
	global_load_b64 v[24:25], v3, s[2:3] offset:24 glc
	s_waitcnt vmcnt(0)
	buffer_gl1_inv
	buffer_gl0_inv
	s_clause 0x1
	global_load_b64 v[22:23], v3, s[2:3] offset:40
	global_load_b64 v[26:27], v3, s[2:3]
	s_mov_b32 s10, exec_lo
	s_waitcnt vmcnt(1)
	v_and_b32_e32 v2, v23, v25
	v_and_b32_e32 v22, v22, v24
	s_delay_alu instid0(VALU_DEP_2) | instskip(NEXT) | instid1(VALU_DEP_2)
	v_mul_lo_u32 v2, v2, 24
	v_mul_hi_u32 v23, v22, 24
	v_mul_lo_u32 v22, v22, 24
	s_delay_alu instid0(VALU_DEP_2) | instskip(SKIP_1) | instid1(VALU_DEP_2)
	v_add_nc_u32_e32 v2, v23, v2
	s_waitcnt vmcnt(0)
	v_add_co_u32 v22, vcc_lo, v26, v22
	s_delay_alu instid0(VALU_DEP_2)
	v_add_co_ci_u32_e32 v23, vcc_lo, v27, v2, vcc_lo
	global_load_b64 v[22:23], v[22:23], off glc
	s_waitcnt vmcnt(0)
	global_atomic_cmpswap_b64 v[26:27], v3, v[22:25], s[2:3] offset:24 glc
	s_waitcnt vmcnt(0)
	buffer_gl1_inv
	buffer_gl0_inv
	v_cmpx_ne_u64_e64 v[26:27], v[24:25]
	s_cbranch_execz .LBB6_1954
; %bb.1951:                             ;   in Loop: Header=BB6_1900 Depth=1
	s_mov_b32 s11, 0
	.p2align	6
.LBB6_1952:                             ;   Parent Loop BB6_1900 Depth=1
                                        ; =>  This Inner Loop Header: Depth=2
	s_sleep 1
	s_clause 0x1
	global_load_b64 v[22:23], v3, s[2:3] offset:40
	global_load_b64 v[30:31], v3, s[2:3]
	v_dual_mov_b32 v24, v26 :: v_dual_mov_b32 v25, v27
	s_waitcnt vmcnt(1)
	s_delay_alu instid0(VALU_DEP_1) | instskip(SKIP_1) | instid1(VALU_DEP_1)
	v_and_b32_e32 v2, v22, v24
	s_waitcnt vmcnt(0)
	v_mad_u64_u32 v[26:27], null, v2, 24, v[30:31]
	v_and_b32_e32 v30, v23, v25
	s_delay_alu instid0(VALU_DEP_2) | instskip(NEXT) | instid1(VALU_DEP_1)
	v_mov_b32_e32 v2, v27
	v_mad_u64_u32 v[22:23], null, v30, 24, v[2:3]
	s_delay_alu instid0(VALU_DEP_1)
	v_mov_b32_e32 v27, v22
	global_load_b64 v[22:23], v[26:27], off glc
	s_waitcnt vmcnt(0)
	global_atomic_cmpswap_b64 v[26:27], v3, v[22:25], s[2:3] offset:24 glc
	s_waitcnt vmcnt(0)
	buffer_gl1_inv
	buffer_gl0_inv
	v_cmp_eq_u64_e32 vcc_lo, v[26:27], v[24:25]
	s_or_b32 s11, vcc_lo, s11
	s_delay_alu instid0(SALU_CYCLE_1)
	s_and_not1_b32 exec_lo, exec_lo, s11
	s_cbranch_execnz .LBB6_1952
; %bb.1953:                             ;   in Loop: Header=BB6_1900 Depth=1
	s_or_b32 exec_lo, exec_lo, s11
.LBB6_1954:                             ;   in Loop: Header=BB6_1900 Depth=1
	s_delay_alu instid0(SALU_CYCLE_1)
	s_or_b32 exec_lo, exec_lo, s10
.LBB6_1955:                             ;   in Loop: Header=BB6_1900 Depth=1
	s_delay_alu instid0(SALU_CYCLE_1)
	s_or_b32 exec_lo, exec_lo, s1
	s_clause 0x1
	global_load_b64 v[30:31], v3, s[2:3] offset:40
	global_load_b128 v[22:25], v3, s[2:3]
	v_readfirstlane_b32 s10, v26
	v_readfirstlane_b32 s11, v27
	s_mov_b32 s1, exec_lo
	s_waitcnt vmcnt(1)
	v_readfirstlane_b32 s12, v30
	v_readfirstlane_b32 s13, v31
	s_delay_alu instid0(VALU_DEP_1) | instskip(NEXT) | instid1(SALU_CYCLE_1)
	s_and_b64 s[12:13], s[10:11], s[12:13]
	s_mul_i32 s14, s13, 24
	s_mul_hi_u32 s15, s12, 24
	s_mul_i32 s16, s12, 24
	s_add_i32 s15, s15, s14
	s_waitcnt vmcnt(0)
	v_add_co_u32 v26, vcc_lo, v22, s16
	v_add_co_ci_u32_e32 v27, vcc_lo, s15, v23, vcc_lo
	s_and_saveexec_b32 s14, s0
	s_cbranch_execz .LBB6_1957
; %bb.1956:                             ;   in Loop: Header=BB6_1900 Depth=1
	v_mov_b32_e32 v2, s1
	global_store_b128 v[26:27], v[2:5], off offset:8
.LBB6_1957:                             ;   in Loop: Header=BB6_1900 Depth=1
	s_or_b32 exec_lo, exec_lo, s14
	s_lshl_b64 s[12:13], s[12:13], 12
	v_or_b32_e32 v2, 2, v6
	v_add_co_u32 v24, vcc_lo, v24, s12
	v_add_co_ci_u32_e32 v25, vcc_lo, s13, v25, vcc_lo
	v_cmp_gt_u64_e64 vcc_lo, s[6:7], 56
	s_lshl_b32 s1, s8, 2
	s_delay_alu instid0(VALU_DEP_3) | instskip(SKIP_4) | instid1(VALU_DEP_1)
	v_readfirstlane_b32 s12, v24
	s_add_i32 s1, s1, 28
	v_readfirstlane_b32 s13, v25
	s_and_b32 s1, s1, 0x1e0
	v_cndmask_b32_e32 v2, v2, v6, vcc_lo
	v_and_or_b32 v6, 0xffffff1f, v2, s1
	s_clause 0x3
	global_store_b128 v28, v[6:9], s[12:13]
	global_store_b128 v28, v[10:13], s[12:13] offset:16
	global_store_b128 v28, v[14:17], s[12:13] offset:32
	;; [unrolled: 1-line block ×3, first 2 shown]
	s_and_saveexec_b32 s1, s0
	s_cbranch_execz .LBB6_1965
; %bb.1958:                             ;   in Loop: Header=BB6_1900 Depth=1
	s_clause 0x1
	global_load_b64 v[14:15], v3, s[2:3] offset:32 glc
	global_load_b64 v[6:7], v3, s[2:3] offset:40
	v_dual_mov_b32 v12, s10 :: v_dual_mov_b32 v13, s11
	s_waitcnt vmcnt(0)
	v_readfirstlane_b32 s12, v6
	v_readfirstlane_b32 s13, v7
	s_delay_alu instid0(VALU_DEP_1) | instskip(NEXT) | instid1(SALU_CYCLE_1)
	s_and_b64 s[12:13], s[12:13], s[10:11]
	s_mul_i32 s13, s13, 24
	s_mul_hi_u32 s14, s12, 24
	s_mul_i32 s12, s12, 24
	s_add_i32 s14, s14, s13
	v_add_co_u32 v10, vcc_lo, v22, s12
	v_add_co_ci_u32_e32 v11, vcc_lo, s14, v23, vcc_lo
	s_mov_b32 s12, exec_lo
	global_store_b64 v[10:11], v[14:15], off
	s_waitcnt_vscnt null, 0x0
	global_atomic_cmpswap_b64 v[8:9], v3, v[12:15], s[2:3] offset:32 glc
	s_waitcnt vmcnt(0)
	v_cmpx_ne_u64_e64 v[8:9], v[14:15]
	s_cbranch_execz .LBB6_1961
; %bb.1959:                             ;   in Loop: Header=BB6_1900 Depth=1
	s_mov_b32 s13, 0
.LBB6_1960:                             ;   Parent Loop BB6_1900 Depth=1
                                        ; =>  This Inner Loop Header: Depth=2
	v_dual_mov_b32 v6, s10 :: v_dual_mov_b32 v7, s11
	s_sleep 1
	global_store_b64 v[10:11], v[8:9], off
	s_waitcnt_vscnt null, 0x0
	global_atomic_cmpswap_b64 v[6:7], v3, v[6:9], s[2:3] offset:32 glc
	s_waitcnt vmcnt(0)
	v_cmp_eq_u64_e32 vcc_lo, v[6:7], v[8:9]
	v_dual_mov_b32 v9, v7 :: v_dual_mov_b32 v8, v6
	s_or_b32 s13, vcc_lo, s13
	s_delay_alu instid0(SALU_CYCLE_1)
	s_and_not1_b32 exec_lo, exec_lo, s13
	s_cbranch_execnz .LBB6_1960
.LBB6_1961:                             ;   in Loop: Header=BB6_1900 Depth=1
	s_or_b32 exec_lo, exec_lo, s12
	global_load_b64 v[6:7], v3, s[2:3] offset:16
	s_mov_b32 s13, exec_lo
	s_mov_b32 s12, exec_lo
	v_mbcnt_lo_u32_b32 v2, s13, 0
	s_delay_alu instid0(VALU_DEP_1)
	v_cmpx_eq_u32_e32 0, v2
	s_cbranch_execz .LBB6_1963
; %bb.1962:                             ;   in Loop: Header=BB6_1900 Depth=1
	s_bcnt1_i32_b32 s13, s13
	s_delay_alu instid0(SALU_CYCLE_1)
	v_mov_b32_e32 v2, s13
	s_waitcnt vmcnt(0)
	global_atomic_add_u64 v[6:7], v[2:3], off offset:8
.LBB6_1963:                             ;   in Loop: Header=BB6_1900 Depth=1
	s_or_b32 exec_lo, exec_lo, s12
	s_waitcnt vmcnt(0)
	global_load_b64 v[8:9], v[6:7], off offset:16
	s_waitcnt vmcnt(0)
	v_cmp_eq_u64_e32 vcc_lo, 0, v[8:9]
	s_cbranch_vccnz .LBB6_1965
; %bb.1964:                             ;   in Loop: Header=BB6_1900 Depth=1
	global_load_b32 v2, v[6:7], off offset:24
	s_waitcnt vmcnt(0)
	v_and_b32_e32 v6, 0xffffff, v2
	s_waitcnt_vscnt null, 0x0
	global_store_b64 v[8:9], v[2:3], off
	v_readfirstlane_b32 m0, v6
	s_sendmsg sendmsg(MSG_INTERRUPT)
.LBB6_1965:                             ;   in Loop: Header=BB6_1900 Depth=1
	s_or_b32 exec_lo, exec_lo, s1
	v_add_co_u32 v6, vcc_lo, v24, v28
	v_add_co_ci_u32_e32 v7, vcc_lo, 0, v25, vcc_lo
	s_branch .LBB6_1967
	.p2align	6
.LBB6_1966:                             ;   in Loop: Header=BB6_1900 Depth=1
	s_branch .LBB6_1971
.LBB6_1967:                             ;   Parent Loop BB6_1900 Depth=1
                                        ; =>  This Inner Loop Header: Depth=2
	v_mov_b32_e32 v2, 1
	s_and_saveexec_b32 s1, s0
	s_cbranch_execz .LBB6_1969
; %bb.1968:                             ;   in Loop: Header=BB6_1967 Depth=2
	global_load_b32 v2, v[26:27], off offset:20 glc
	s_waitcnt vmcnt(0)
	buffer_gl1_inv
	buffer_gl0_inv
	v_and_b32_e32 v2, 1, v2
.LBB6_1969:                             ;   in Loop: Header=BB6_1967 Depth=2
	s_or_b32 exec_lo, exec_lo, s1
	s_delay_alu instid0(VALU_DEP_1) | instskip(NEXT) | instid1(VALU_DEP_1)
	v_readfirstlane_b32 s1, v2
	s_cmp_eq_u32 s1, 0
	s_cbranch_scc1 .LBB6_1966
; %bb.1970:                             ;   in Loop: Header=BB6_1967 Depth=2
	s_sleep 1
	s_cbranch_execnz .LBB6_1967
.LBB6_1971:                             ;   in Loop: Header=BB6_1900 Depth=1
	global_load_b128 v[6:9], v[6:7], off
	s_and_saveexec_b32 s1, s0
	s_cbranch_execz .LBB6_1899
; %bb.1972:                             ;   in Loop: Header=BB6_1900 Depth=1
	s_clause 0x2
	global_load_b64 v[10:11], v3, s[2:3] offset:40
	global_load_b64 v[14:15], v3, s[2:3] offset:24 glc
	global_load_b64 v[12:13], v3, s[2:3]
	s_waitcnt vmcnt(2)
	v_add_co_u32 v2, vcc_lo, v10, 1
	v_add_co_ci_u32_e32 v16, vcc_lo, 0, v11, vcc_lo
	s_delay_alu instid0(VALU_DEP_2) | instskip(NEXT) | instid1(VALU_DEP_2)
	v_add_co_u32 v8, vcc_lo, v2, s10
	v_add_co_ci_u32_e32 v9, vcc_lo, s11, v16, vcc_lo
	s_delay_alu instid0(VALU_DEP_1) | instskip(SKIP_1) | instid1(VALU_DEP_1)
	v_cmp_eq_u64_e32 vcc_lo, 0, v[8:9]
	v_dual_cndmask_b32 v9, v9, v16 :: v_dual_cndmask_b32 v8, v8, v2
	v_and_b32_e32 v2, v9, v11
	s_delay_alu instid0(VALU_DEP_2) | instskip(NEXT) | instid1(VALU_DEP_2)
	v_and_b32_e32 v10, v8, v10
	v_mul_lo_u32 v2, v2, 24
	s_delay_alu instid0(VALU_DEP_2) | instskip(SKIP_1) | instid1(VALU_DEP_2)
	v_mul_hi_u32 v11, v10, 24
	v_mul_lo_u32 v10, v10, 24
	v_add_nc_u32_e32 v2, v11, v2
	s_waitcnt vmcnt(1)
	v_mov_b32_e32 v11, v15
	s_waitcnt vmcnt(0)
	s_delay_alu instid0(VALU_DEP_3)
	v_add_co_u32 v12, vcc_lo, v12, v10
	v_mov_b32_e32 v10, v14
	v_add_co_ci_u32_e32 v13, vcc_lo, v13, v2, vcc_lo
	global_store_b64 v[12:13], v[14:15], off
	s_waitcnt_vscnt null, 0x0
	global_atomic_cmpswap_b64 v[10:11], v3, v[8:11], s[2:3] offset:24 glc
	s_waitcnt vmcnt(0)
	v_cmp_ne_u64_e32 vcc_lo, v[10:11], v[14:15]
	s_and_b32 exec_lo, exec_lo, vcc_lo
	s_cbranch_execz .LBB6_1899
; %bb.1973:                             ;   in Loop: Header=BB6_1900 Depth=1
	s_mov_b32 s0, 0
.LBB6_1974:                             ;   Parent Loop BB6_1900 Depth=1
                                        ; =>  This Inner Loop Header: Depth=2
	s_sleep 1
	global_store_b64 v[12:13], v[10:11], off
	s_waitcnt_vscnt null, 0x0
	global_atomic_cmpswap_b64 v[14:15], v3, v[8:11], s[2:3] offset:24 glc
	s_waitcnt vmcnt(0)
	v_cmp_eq_u64_e32 vcc_lo, v[14:15], v[10:11]
	v_dual_mov_b32 v10, v14 :: v_dual_mov_b32 v11, v15
	s_or_b32 s0, vcc_lo, s0
	s_delay_alu instid0(SALU_CYCLE_1)
	s_and_not1_b32 exec_lo, exec_lo, s0
	s_cbranch_execnz .LBB6_1974
	s_branch .LBB6_1899
.LBB6_1975:
	s_branch .LBB6_2004
.LBB6_1976:
	s_cbranch_execz .LBB6_2004
; %bb.1977:
	v_readfirstlane_b32 s0, v29
	s_waitcnt vmcnt(0)
	v_mov_b32_e32 v8, 0
	v_mov_b32_e32 v9, 0
	s_delay_alu instid0(VALU_DEP_3) | instskip(NEXT) | instid1(VALU_DEP_1)
	v_cmp_eq_u32_e64 s0, s0, v29
	s_and_saveexec_b32 s1, s0
	s_cbranch_execz .LBB6_1983
; %bb.1978:
	v_mov_b32_e32 v2, 0
	s_mov_b32 s4, exec_lo
	global_load_b64 v[5:6], v2, s[2:3] offset:24 glc
	s_waitcnt vmcnt(0)
	buffer_gl1_inv
	buffer_gl0_inv
	s_clause 0x1
	global_load_b64 v[3:4], v2, s[2:3] offset:40
	global_load_b64 v[7:8], v2, s[2:3]
	s_waitcnt vmcnt(1)
	v_and_b32_e32 v3, v3, v5
	v_and_b32_e32 v4, v4, v6
	s_delay_alu instid0(VALU_DEP_2) | instskip(NEXT) | instid1(VALU_DEP_2)
	v_mul_hi_u32 v9, v3, 24
	v_mul_lo_u32 v4, v4, 24
	v_mul_lo_u32 v3, v3, 24
	s_delay_alu instid0(VALU_DEP_2) | instskip(SKIP_1) | instid1(VALU_DEP_2)
	v_add_nc_u32_e32 v4, v9, v4
	s_waitcnt vmcnt(0)
	v_add_co_u32 v3, vcc_lo, v7, v3
	s_delay_alu instid0(VALU_DEP_2)
	v_add_co_ci_u32_e32 v4, vcc_lo, v8, v4, vcc_lo
	global_load_b64 v[3:4], v[3:4], off glc
	s_waitcnt vmcnt(0)
	global_atomic_cmpswap_b64 v[8:9], v2, v[3:6], s[2:3] offset:24 glc
	s_waitcnt vmcnt(0)
	buffer_gl1_inv
	buffer_gl0_inv
	v_cmpx_ne_u64_e64 v[8:9], v[5:6]
	s_cbranch_execz .LBB6_1982
; %bb.1979:
	s_mov_b32 s5, 0
	.p2align	6
.LBB6_1980:                             ; =>This Inner Loop Header: Depth=1
	s_sleep 1
	s_clause 0x1
	global_load_b64 v[3:4], v2, s[2:3] offset:40
	global_load_b64 v[10:11], v2, s[2:3]
	v_dual_mov_b32 v5, v8 :: v_dual_mov_b32 v6, v9
	s_waitcnt vmcnt(1)
	s_delay_alu instid0(VALU_DEP_1) | instskip(NEXT) | instid1(VALU_DEP_2)
	v_and_b32_e32 v3, v3, v5
	v_and_b32_e32 v4, v4, v6
	s_waitcnt vmcnt(0)
	s_delay_alu instid0(VALU_DEP_2) | instskip(NEXT) | instid1(VALU_DEP_1)
	v_mad_u64_u32 v[7:8], null, v3, 24, v[10:11]
	v_mov_b32_e32 v3, v8
	s_delay_alu instid0(VALU_DEP_1)
	v_mad_u64_u32 v[8:9], null, v4, 24, v[3:4]
	global_load_b64 v[3:4], v[7:8], off glc
	s_waitcnt vmcnt(0)
	global_atomic_cmpswap_b64 v[8:9], v2, v[3:6], s[2:3] offset:24 glc
	s_waitcnt vmcnt(0)
	buffer_gl1_inv
	buffer_gl0_inv
	v_cmp_eq_u64_e32 vcc_lo, v[8:9], v[5:6]
	s_or_b32 s5, vcc_lo, s5
	s_delay_alu instid0(SALU_CYCLE_1)
	s_and_not1_b32 exec_lo, exec_lo, s5
	s_cbranch_execnz .LBB6_1980
; %bb.1981:
	s_or_b32 exec_lo, exec_lo, s5
.LBB6_1982:
	s_delay_alu instid0(SALU_CYCLE_1)
	s_or_b32 exec_lo, exec_lo, s4
.LBB6_1983:
	s_delay_alu instid0(SALU_CYCLE_1)
	s_or_b32 exec_lo, exec_lo, s1
	v_mov_b32_e32 v2, 0
	v_readfirstlane_b32 s4, v8
	v_readfirstlane_b32 s5, v9
	s_mov_b32 s1, exec_lo
	s_clause 0x1
	global_load_b64 v[10:11], v2, s[2:3] offset:40
	global_load_b128 v[4:7], v2, s[2:3]
	s_waitcnt vmcnt(1)
	v_readfirstlane_b32 s6, v10
	v_readfirstlane_b32 s7, v11
	s_delay_alu instid0(VALU_DEP_1) | instskip(NEXT) | instid1(SALU_CYCLE_1)
	s_and_b64 s[6:7], s[4:5], s[6:7]
	s_mul_i32 s8, s7, 24
	s_mul_hi_u32 s9, s6, 24
	s_mul_i32 s10, s6, 24
	s_add_i32 s9, s9, s8
	s_waitcnt vmcnt(0)
	v_add_co_u32 v8, vcc_lo, v4, s10
	v_add_co_ci_u32_e32 v9, vcc_lo, s9, v5, vcc_lo
	s_and_saveexec_b32 s8, s0
	s_cbranch_execz .LBB6_1985
; %bb.1984:
	v_dual_mov_b32 v10, s1 :: v_dual_mov_b32 v11, v2
	v_dual_mov_b32 v12, 2 :: v_dual_mov_b32 v13, 1
	global_store_b128 v[8:9], v[10:13], off offset:8
.LBB6_1985:
	s_or_b32 exec_lo, exec_lo, s8
	s_lshl_b64 s[6:7], s[6:7], 12
	s_mov_b32 s8, 0
	v_add_co_u32 v6, vcc_lo, v6, s6
	v_add_co_ci_u32_e32 v7, vcc_lo, s7, v7, vcc_lo
	s_mov_b32 s11, s8
	s_mov_b32 s9, s8
	;; [unrolled: 1-line block ×3, first 2 shown]
	v_and_or_b32 v0, 0xffffff1d, v0, 34
	v_mov_b32_e32 v3, v2
	v_readfirstlane_b32 s6, v6
	v_readfirstlane_b32 s7, v7
	v_dual_mov_b32 v13, s11 :: v_dual_mov_b32 v10, s8
	v_dual_mov_b32 v12, s10 :: v_dual_mov_b32 v11, s9
	s_clause 0x3
	global_store_b128 v28, v[0:3], s[6:7]
	global_store_b128 v28, v[10:13], s[6:7] offset:16
	global_store_b128 v28, v[10:13], s[6:7] offset:32
	;; [unrolled: 1-line block ×3, first 2 shown]
	s_and_saveexec_b32 s1, s0
	s_cbranch_execz .LBB6_1993
; %bb.1986:
	v_dual_mov_b32 v6, 0 :: v_dual_mov_b32 v11, s5
	v_mov_b32_e32 v10, s4
	s_clause 0x1
	global_load_b64 v[12:13], v6, s[2:3] offset:32 glc
	global_load_b64 v[0:1], v6, s[2:3] offset:40
	s_waitcnt vmcnt(0)
	v_readfirstlane_b32 s6, v0
	v_readfirstlane_b32 s7, v1
	s_delay_alu instid0(VALU_DEP_1) | instskip(NEXT) | instid1(SALU_CYCLE_1)
	s_and_b64 s[6:7], s[6:7], s[4:5]
	s_mul_i32 s7, s7, 24
	s_mul_hi_u32 s8, s6, 24
	s_mul_i32 s6, s6, 24
	s_add_i32 s8, s8, s7
	v_add_co_u32 v4, vcc_lo, v4, s6
	v_add_co_ci_u32_e32 v5, vcc_lo, s8, v5, vcc_lo
	s_mov_b32 s6, exec_lo
	global_store_b64 v[4:5], v[12:13], off
	s_waitcnt_vscnt null, 0x0
	global_atomic_cmpswap_b64 v[2:3], v6, v[10:13], s[2:3] offset:32 glc
	s_waitcnt vmcnt(0)
	v_cmpx_ne_u64_e64 v[2:3], v[12:13]
	s_cbranch_execz .LBB6_1989
; %bb.1987:
	s_mov_b32 s7, 0
.LBB6_1988:                             ; =>This Inner Loop Header: Depth=1
	v_dual_mov_b32 v0, s4 :: v_dual_mov_b32 v1, s5
	s_sleep 1
	global_store_b64 v[4:5], v[2:3], off
	s_waitcnt_vscnt null, 0x0
	global_atomic_cmpswap_b64 v[0:1], v6, v[0:3], s[2:3] offset:32 glc
	s_waitcnt vmcnt(0)
	v_cmp_eq_u64_e32 vcc_lo, v[0:1], v[2:3]
	v_dual_mov_b32 v3, v1 :: v_dual_mov_b32 v2, v0
	s_or_b32 s7, vcc_lo, s7
	s_delay_alu instid0(SALU_CYCLE_1)
	s_and_not1_b32 exec_lo, exec_lo, s7
	s_cbranch_execnz .LBB6_1988
.LBB6_1989:
	s_or_b32 exec_lo, exec_lo, s6
	v_mov_b32_e32 v3, 0
	s_mov_b32 s7, exec_lo
	s_mov_b32 s6, exec_lo
	v_mbcnt_lo_u32_b32 v2, s7, 0
	global_load_b64 v[0:1], v3, s[2:3] offset:16
	v_cmpx_eq_u32_e32 0, v2
	s_cbranch_execz .LBB6_1991
; %bb.1990:
	s_bcnt1_i32_b32 s7, s7
	s_delay_alu instid0(SALU_CYCLE_1)
	v_mov_b32_e32 v2, s7
	s_waitcnt vmcnt(0)
	global_atomic_add_u64 v[0:1], v[2:3], off offset:8
.LBB6_1991:
	s_or_b32 exec_lo, exec_lo, s6
	s_waitcnt vmcnt(0)
	global_load_b64 v[2:3], v[0:1], off offset:16
	s_waitcnt vmcnt(0)
	v_cmp_eq_u64_e32 vcc_lo, 0, v[2:3]
	s_cbranch_vccnz .LBB6_1993
; %bb.1992:
	global_load_b32 v0, v[0:1], off offset:24
	s_waitcnt vmcnt(0)
	v_dual_mov_b32 v1, 0 :: v_dual_and_b32 v4, 0xffffff, v0
	s_waitcnt_vscnt null, 0x0
	global_store_b64 v[2:3], v[0:1], off
	v_readfirstlane_b32 m0, v4
	s_sendmsg sendmsg(MSG_INTERRUPT)
.LBB6_1993:
	s_or_b32 exec_lo, exec_lo, s1
	s_branch .LBB6_1995
	.p2align	6
.LBB6_1994:
	s_branch .LBB6_1999
.LBB6_1995:                             ; =>This Inner Loop Header: Depth=1
	v_mov_b32_e32 v0, 1
	s_and_saveexec_b32 s1, s0
	s_cbranch_execz .LBB6_1997
; %bb.1996:                             ;   in Loop: Header=BB6_1995 Depth=1
	global_load_b32 v0, v[8:9], off offset:20 glc
	s_waitcnt vmcnt(0)
	buffer_gl1_inv
	buffer_gl0_inv
	v_and_b32_e32 v0, 1, v0
.LBB6_1997:                             ;   in Loop: Header=BB6_1995 Depth=1
	s_or_b32 exec_lo, exec_lo, s1
	s_delay_alu instid0(VALU_DEP_1) | instskip(NEXT) | instid1(VALU_DEP_1)
	v_readfirstlane_b32 s1, v0
	s_cmp_eq_u32 s1, 0
	s_cbranch_scc1 .LBB6_1994
; %bb.1998:                             ;   in Loop: Header=BB6_1995 Depth=1
	s_sleep 1
	s_cbranch_execnz .LBB6_1995
.LBB6_1999:
	s_and_saveexec_b32 s1, s0
	s_cbranch_execz .LBB6_2003
; %bb.2000:
	v_mov_b32_e32 v6, 0
	s_clause 0x2
	global_load_b64 v[2:3], v6, s[2:3] offset:40
	global_load_b64 v[7:8], v6, s[2:3] offset:24 glc
	global_load_b64 v[4:5], v6, s[2:3]
	s_waitcnt vmcnt(2)
	v_add_co_u32 v9, vcc_lo, v2, 1
	v_add_co_ci_u32_e32 v10, vcc_lo, 0, v3, vcc_lo
	s_delay_alu instid0(VALU_DEP_2) | instskip(NEXT) | instid1(VALU_DEP_2)
	v_add_co_u32 v0, vcc_lo, v9, s4
	v_add_co_ci_u32_e32 v1, vcc_lo, s5, v10, vcc_lo
	s_delay_alu instid0(VALU_DEP_1) | instskip(SKIP_1) | instid1(VALU_DEP_1)
	v_cmp_eq_u64_e32 vcc_lo, 0, v[0:1]
	v_dual_cndmask_b32 v1, v1, v10 :: v_dual_cndmask_b32 v0, v0, v9
	v_and_b32_e32 v3, v1, v3
	s_delay_alu instid0(VALU_DEP_2) | instskip(NEXT) | instid1(VALU_DEP_2)
	v_and_b32_e32 v2, v0, v2
	v_mul_lo_u32 v3, v3, 24
	s_delay_alu instid0(VALU_DEP_2) | instskip(SKIP_1) | instid1(VALU_DEP_2)
	v_mul_hi_u32 v9, v2, 24
	v_mul_lo_u32 v2, v2, 24
	v_add_nc_u32_e32 v3, v9, v3
	s_waitcnt vmcnt(0)
	s_delay_alu instid0(VALU_DEP_2) | instskip(SKIP_1) | instid1(VALU_DEP_3)
	v_add_co_u32 v4, vcc_lo, v4, v2
	v_mov_b32_e32 v2, v7
	v_add_co_ci_u32_e32 v5, vcc_lo, v5, v3, vcc_lo
	v_mov_b32_e32 v3, v8
	global_store_b64 v[4:5], v[7:8], off
	s_waitcnt_vscnt null, 0x0
	global_atomic_cmpswap_b64 v[2:3], v6, v[0:3], s[2:3] offset:24 glc
	s_waitcnt vmcnt(0)
	v_cmp_ne_u64_e32 vcc_lo, v[2:3], v[7:8]
	s_and_b32 exec_lo, exec_lo, vcc_lo
	s_cbranch_execz .LBB6_2003
; %bb.2001:
	s_mov_b32 s0, 0
.LBB6_2002:                             ; =>This Inner Loop Header: Depth=1
	s_sleep 1
	global_store_b64 v[4:5], v[2:3], off
	s_waitcnt_vscnt null, 0x0
	global_atomic_cmpswap_b64 v[7:8], v6, v[0:3], s[2:3] offset:24 glc
	s_waitcnt vmcnt(0)
	v_cmp_eq_u64_e32 vcc_lo, v[7:8], v[2:3]
	v_dual_mov_b32 v2, v7 :: v_dual_mov_b32 v3, v8
	s_or_b32 s0, vcc_lo, s0
	s_delay_alu instid0(SALU_CYCLE_1)
	s_and_not1_b32 exec_lo, exec_lo, s0
	s_cbranch_execnz .LBB6_2002
.LBB6_2003:
	s_or_b32 exec_lo, exec_lo, s1
.LBB6_2004:
	s_getpc_b64 s[0:1]
	s_add_u32 s0, s0, .str.29@rel32@lo+4
	s_addc_u32 s1, s1, .str.29@rel32@hi+12
	s_getpc_b64 s[2:3]
	s_add_u32 s2, s2, .str.19@rel32@lo+4
	s_addc_u32 s3, s3, .str.19@rel32@hi+12
	s_getpc_b64 s[4:5]
	s_add_u32 s4, s4, __PRETTY_FUNCTION__._ZN7VecsMemIjLi8192EE5fetchEi@rel32@lo+4
	s_addc_u32 s5, s5, __PRETTY_FUNCTION__._ZN7VecsMemIjLi8192EE5fetchEi@rel32@hi+12
	s_waitcnt vmcnt(0)
	v_dual_mov_b32 v0, s0 :: v_dual_mov_b32 v1, s1
	v_dual_mov_b32 v2, s2 :: v_dual_mov_b32 v3, s3
	;; [unrolled: 1-line block ×3, first 2 shown]
	v_mov_b32_e32 v6, s5
	s_mov_b64 s[8:9], s[44:45]
	s_getpc_b64 s[6:7]
	s_add_u32 s6, s6, __assert_fail@rel32@lo+4
	s_addc_u32 s7, s7, __assert_fail@rel32@hi+12
	s_delay_alu instid0(SALU_CYCLE_1)
	s_swappc_b64 s[30:31], s[6:7]
	s_or_b32 s17, s17, exec_lo
                                        ; implicit-def: $vgpr40
.LBB6_2005:
	s_or_b32 exec_lo, exec_lo, s18
	s_delay_alu instid0(SALU_CYCLE_1) | instskip(SKIP_1) | instid1(SALU_CYCLE_1)
	s_and_not1_b32 s0, s46, exec_lo
	s_and_b32 s1, s17, exec_lo
	s_or_b32 s0, s0, s1
.LBB6_2006:
	s_or_b32 exec_lo, exec_lo, s21
	s_delay_alu instid0(SALU_CYCLE_1) | instskip(SKIP_1) | instid1(SALU_CYCLE_1)
	s_and_not1_b32 s1, s46, exec_lo
	s_and_b32 s0, s0, exec_lo
	s_or_b32 s46, s1, s0
	s_or_b32 exec_lo, exec_lo, s47
	s_and_saveexec_b32 s0, s46
	s_cbranch_execnz .LBB6_3
	s_branch .LBB6_4
.LBB6_2007:
	s_mov_b32 s0, 0
	s_branch .LBB6_2009
.LBB6_2008:
	s_mov_b32 s0, -1
.LBB6_2009:
	s_delay_alu instid0(SALU_CYCLE_1)
	s_and_b32 vcc_lo, exec_lo, s0
	s_cbranch_vccz .LBB6_2037
; %bb.2010:
	v_readfirstlane_b32 s0, v29
	s_waitcnt vmcnt(0)
	v_mov_b32_e32 v8, 0
	v_mov_b32_e32 v9, 0
	s_delay_alu instid0(VALU_DEP_3) | instskip(NEXT) | instid1(VALU_DEP_1)
	v_cmp_eq_u32_e64 s0, s0, v29
	s_and_saveexec_b32 s1, s0
	s_cbranch_execz .LBB6_2016
; %bb.2011:
	v_mov_b32_e32 v2, 0
	s_mov_b32 s4, exec_lo
	global_load_b64 v[5:6], v2, s[2:3] offset:24 glc
	s_waitcnt vmcnt(0)
	buffer_gl1_inv
	buffer_gl0_inv
	s_clause 0x1
	global_load_b64 v[3:4], v2, s[2:3] offset:40
	global_load_b64 v[7:8], v2, s[2:3]
	s_waitcnt vmcnt(1)
	v_and_b32_e32 v3, v3, v5
	v_and_b32_e32 v4, v4, v6
	s_delay_alu instid0(VALU_DEP_2) | instskip(NEXT) | instid1(VALU_DEP_2)
	v_mul_hi_u32 v9, v3, 24
	v_mul_lo_u32 v4, v4, 24
	v_mul_lo_u32 v3, v3, 24
	s_delay_alu instid0(VALU_DEP_2) | instskip(SKIP_1) | instid1(VALU_DEP_2)
	v_add_nc_u32_e32 v4, v9, v4
	s_waitcnt vmcnt(0)
	v_add_co_u32 v3, vcc_lo, v7, v3
	s_delay_alu instid0(VALU_DEP_2)
	v_add_co_ci_u32_e32 v4, vcc_lo, v8, v4, vcc_lo
	global_load_b64 v[3:4], v[3:4], off glc
	s_waitcnt vmcnt(0)
	global_atomic_cmpswap_b64 v[8:9], v2, v[3:6], s[2:3] offset:24 glc
	s_waitcnt vmcnt(0)
	buffer_gl1_inv
	buffer_gl0_inv
	v_cmpx_ne_u64_e64 v[8:9], v[5:6]
	s_cbranch_execz .LBB6_2015
; %bb.2012:
	s_mov_b32 s5, 0
.LBB6_2013:                             ; =>This Inner Loop Header: Depth=1
	s_sleep 1
	s_clause 0x1
	global_load_b64 v[3:4], v2, s[2:3] offset:40
	global_load_b64 v[10:11], v2, s[2:3]
	v_dual_mov_b32 v5, v8 :: v_dual_mov_b32 v6, v9
	s_waitcnt vmcnt(1)
	s_delay_alu instid0(VALU_DEP_1) | instskip(NEXT) | instid1(VALU_DEP_2)
	v_and_b32_e32 v3, v3, v5
	v_and_b32_e32 v4, v4, v6
	s_waitcnt vmcnt(0)
	s_delay_alu instid0(VALU_DEP_2) | instskip(NEXT) | instid1(VALU_DEP_1)
	v_mad_u64_u32 v[7:8], null, v3, 24, v[10:11]
	v_mov_b32_e32 v3, v8
	s_delay_alu instid0(VALU_DEP_1)
	v_mad_u64_u32 v[8:9], null, v4, 24, v[3:4]
	global_load_b64 v[3:4], v[7:8], off glc
	s_waitcnt vmcnt(0)
	global_atomic_cmpswap_b64 v[8:9], v2, v[3:6], s[2:3] offset:24 glc
	s_waitcnt vmcnt(0)
	buffer_gl1_inv
	buffer_gl0_inv
	v_cmp_eq_u64_e32 vcc_lo, v[8:9], v[5:6]
	s_or_b32 s5, vcc_lo, s5
	s_delay_alu instid0(SALU_CYCLE_1)
	s_and_not1_b32 exec_lo, exec_lo, s5
	s_cbranch_execnz .LBB6_2013
; %bb.2014:
	s_or_b32 exec_lo, exec_lo, s5
.LBB6_2015:
	s_delay_alu instid0(SALU_CYCLE_1)
	s_or_b32 exec_lo, exec_lo, s4
.LBB6_2016:
	s_delay_alu instid0(SALU_CYCLE_1)
	s_or_b32 exec_lo, exec_lo, s1
	v_mov_b32_e32 v2, 0
	v_readfirstlane_b32 s4, v8
	v_readfirstlane_b32 s5, v9
	s_mov_b32 s1, exec_lo
	s_clause 0x1
	global_load_b64 v[10:11], v2, s[2:3] offset:40
	global_load_b128 v[4:7], v2, s[2:3]
	s_waitcnt vmcnt(1)
	v_readfirstlane_b32 s6, v10
	v_readfirstlane_b32 s7, v11
	s_delay_alu instid0(VALU_DEP_1) | instskip(NEXT) | instid1(SALU_CYCLE_1)
	s_and_b64 s[6:7], s[4:5], s[6:7]
	s_mul_i32 s8, s7, 24
	s_mul_hi_u32 s9, s6, 24
	s_mul_i32 s10, s6, 24
	s_add_i32 s9, s9, s8
	s_waitcnt vmcnt(0)
	v_add_co_u32 v8, vcc_lo, v4, s10
	v_add_co_ci_u32_e32 v9, vcc_lo, s9, v5, vcc_lo
	s_and_saveexec_b32 s8, s0
	s_cbranch_execz .LBB6_2018
; %bb.2017:
	v_dual_mov_b32 v10, s1 :: v_dual_mov_b32 v11, v2
	v_dual_mov_b32 v12, 2 :: v_dual_mov_b32 v13, 1
	global_store_b128 v[8:9], v[10:13], off offset:8
.LBB6_2018:
	s_or_b32 exec_lo, exec_lo, s8
	s_lshl_b64 s[6:7], s[6:7], 12
	s_mov_b32 s8, 0
	v_add_co_u32 v6, vcc_lo, v6, s6
	v_add_co_ci_u32_e32 v7, vcc_lo, s7, v7, vcc_lo
	s_mov_b32 s11, s8
	s_mov_b32 s9, s8
	;; [unrolled: 1-line block ×3, first 2 shown]
	v_and_or_b32 v0, 0xffffff1d, v0, 34
	v_mov_b32_e32 v3, v2
	v_readfirstlane_b32 s6, v6
	v_readfirstlane_b32 s7, v7
	v_dual_mov_b32 v13, s11 :: v_dual_mov_b32 v10, s8
	v_dual_mov_b32 v12, s10 :: v_dual_mov_b32 v11, s9
	s_clause 0x3
	global_store_b128 v28, v[0:3], s[6:7]
	global_store_b128 v28, v[10:13], s[6:7] offset:16
	global_store_b128 v28, v[10:13], s[6:7] offset:32
	;; [unrolled: 1-line block ×3, first 2 shown]
	s_and_saveexec_b32 s1, s0
	s_cbranch_execz .LBB6_2026
; %bb.2019:
	v_dual_mov_b32 v6, 0 :: v_dual_mov_b32 v11, s5
	v_mov_b32_e32 v10, s4
	s_clause 0x1
	global_load_b64 v[12:13], v6, s[2:3] offset:32 glc
	global_load_b64 v[0:1], v6, s[2:3] offset:40
	s_waitcnt vmcnt(0)
	v_readfirstlane_b32 s6, v0
	v_readfirstlane_b32 s7, v1
	s_delay_alu instid0(VALU_DEP_1) | instskip(NEXT) | instid1(SALU_CYCLE_1)
	s_and_b64 s[6:7], s[6:7], s[4:5]
	s_mul_i32 s7, s7, 24
	s_mul_hi_u32 s8, s6, 24
	s_mul_i32 s6, s6, 24
	s_add_i32 s8, s8, s7
	v_add_co_u32 v4, vcc_lo, v4, s6
	v_add_co_ci_u32_e32 v5, vcc_lo, s8, v5, vcc_lo
	s_mov_b32 s6, exec_lo
	global_store_b64 v[4:5], v[12:13], off
	s_waitcnt_vscnt null, 0x0
	global_atomic_cmpswap_b64 v[2:3], v6, v[10:13], s[2:3] offset:32 glc
	s_waitcnt vmcnt(0)
	v_cmpx_ne_u64_e64 v[2:3], v[12:13]
	s_cbranch_execz .LBB6_2022
; %bb.2020:
	s_mov_b32 s7, 0
.LBB6_2021:                             ; =>This Inner Loop Header: Depth=1
	v_dual_mov_b32 v0, s4 :: v_dual_mov_b32 v1, s5
	s_sleep 1
	global_store_b64 v[4:5], v[2:3], off
	s_waitcnt_vscnt null, 0x0
	global_atomic_cmpswap_b64 v[0:1], v6, v[0:3], s[2:3] offset:32 glc
	s_waitcnt vmcnt(0)
	v_cmp_eq_u64_e32 vcc_lo, v[0:1], v[2:3]
	v_dual_mov_b32 v3, v1 :: v_dual_mov_b32 v2, v0
	s_or_b32 s7, vcc_lo, s7
	s_delay_alu instid0(SALU_CYCLE_1)
	s_and_not1_b32 exec_lo, exec_lo, s7
	s_cbranch_execnz .LBB6_2021
.LBB6_2022:
	s_or_b32 exec_lo, exec_lo, s6
	v_mov_b32_e32 v3, 0
	s_mov_b32 s7, exec_lo
	s_mov_b32 s6, exec_lo
	v_mbcnt_lo_u32_b32 v2, s7, 0
	global_load_b64 v[0:1], v3, s[2:3] offset:16
	v_cmpx_eq_u32_e32 0, v2
	s_cbranch_execz .LBB6_2024
; %bb.2023:
	s_bcnt1_i32_b32 s7, s7
	s_delay_alu instid0(SALU_CYCLE_1)
	v_mov_b32_e32 v2, s7
	s_waitcnt vmcnt(0)
	global_atomic_add_u64 v[0:1], v[2:3], off offset:8
.LBB6_2024:
	s_or_b32 exec_lo, exec_lo, s6
	s_waitcnt vmcnt(0)
	global_load_b64 v[2:3], v[0:1], off offset:16
	s_waitcnt vmcnt(0)
	v_cmp_eq_u64_e32 vcc_lo, 0, v[2:3]
	s_cbranch_vccnz .LBB6_2026
; %bb.2025:
	global_load_b32 v0, v[0:1], off offset:24
	s_waitcnt vmcnt(0)
	v_dual_mov_b32 v1, 0 :: v_dual_and_b32 v4, 0xffffff, v0
	s_waitcnt_vscnt null, 0x0
	global_store_b64 v[2:3], v[0:1], off
	v_readfirstlane_b32 m0, v4
	s_sendmsg sendmsg(MSG_INTERRUPT)
.LBB6_2026:
	s_or_b32 exec_lo, exec_lo, s1
	s_branch .LBB6_2028
.LBB6_2027:
	s_branch .LBB6_2032
.LBB6_2028:                             ; =>This Inner Loop Header: Depth=1
	v_mov_b32_e32 v0, 1
	s_and_saveexec_b32 s1, s0
	s_cbranch_execz .LBB6_2030
; %bb.2029:                             ;   in Loop: Header=BB6_2028 Depth=1
	global_load_b32 v0, v[8:9], off offset:20 glc
	s_waitcnt vmcnt(0)
	buffer_gl1_inv
	buffer_gl0_inv
	v_and_b32_e32 v0, 1, v0
.LBB6_2030:                             ;   in Loop: Header=BB6_2028 Depth=1
	s_or_b32 exec_lo, exec_lo, s1
	s_delay_alu instid0(VALU_DEP_1) | instskip(NEXT) | instid1(VALU_DEP_1)
	v_readfirstlane_b32 s1, v0
	s_cmp_eq_u32 s1, 0
	s_cbranch_scc1 .LBB6_2027
; %bb.2031:                             ;   in Loop: Header=BB6_2028 Depth=1
	s_sleep 1
	s_cbranch_execnz .LBB6_2028
.LBB6_2032:
	s_and_saveexec_b32 s1, s0
	s_cbranch_execz .LBB6_2036
; %bb.2033:
	v_mov_b32_e32 v6, 0
	s_clause 0x2
	global_load_b64 v[2:3], v6, s[2:3] offset:40
	global_load_b64 v[7:8], v6, s[2:3] offset:24 glc
	global_load_b64 v[4:5], v6, s[2:3]
	s_waitcnt vmcnt(2)
	v_add_co_u32 v9, vcc_lo, v2, 1
	v_add_co_ci_u32_e32 v10, vcc_lo, 0, v3, vcc_lo
	s_delay_alu instid0(VALU_DEP_2) | instskip(NEXT) | instid1(VALU_DEP_2)
	v_add_co_u32 v0, vcc_lo, v9, s4
	v_add_co_ci_u32_e32 v1, vcc_lo, s5, v10, vcc_lo
	s_delay_alu instid0(VALU_DEP_1) | instskip(SKIP_1) | instid1(VALU_DEP_1)
	v_cmp_eq_u64_e32 vcc_lo, 0, v[0:1]
	v_dual_cndmask_b32 v1, v1, v10 :: v_dual_cndmask_b32 v0, v0, v9
	v_and_b32_e32 v3, v1, v3
	s_delay_alu instid0(VALU_DEP_2) | instskip(NEXT) | instid1(VALU_DEP_2)
	v_and_b32_e32 v2, v0, v2
	v_mul_lo_u32 v3, v3, 24
	s_delay_alu instid0(VALU_DEP_2) | instskip(SKIP_1) | instid1(VALU_DEP_2)
	v_mul_hi_u32 v9, v2, 24
	v_mul_lo_u32 v2, v2, 24
	v_add_nc_u32_e32 v3, v9, v3
	s_waitcnt vmcnt(0)
	s_delay_alu instid0(VALU_DEP_2) | instskip(SKIP_1) | instid1(VALU_DEP_3)
	v_add_co_u32 v4, vcc_lo, v4, v2
	v_mov_b32_e32 v2, v7
	v_add_co_ci_u32_e32 v5, vcc_lo, v5, v3, vcc_lo
	v_mov_b32_e32 v3, v8
	global_store_b64 v[4:5], v[7:8], off
	s_waitcnt_vscnt null, 0x0
	global_atomic_cmpswap_b64 v[2:3], v6, v[0:3], s[2:3] offset:24 glc
	s_waitcnt vmcnt(0)
	v_cmp_ne_u64_e32 vcc_lo, v[2:3], v[7:8]
	s_and_b32 exec_lo, exec_lo, vcc_lo
	s_cbranch_execz .LBB6_2036
; %bb.2034:
	s_mov_b32 s0, 0
.LBB6_2035:                             ; =>This Inner Loop Header: Depth=1
	s_sleep 1
	global_store_b64 v[4:5], v[2:3], off
	s_waitcnt_vscnt null, 0x0
	global_atomic_cmpswap_b64 v[7:8], v6, v[0:3], s[2:3] offset:24 glc
	s_waitcnt vmcnt(0)
	v_cmp_eq_u64_e32 vcc_lo, v[7:8], v[2:3]
	v_dual_mov_b32 v2, v7 :: v_dual_mov_b32 v3, v8
	s_or_b32 s0, vcc_lo, s0
	s_delay_alu instid0(SALU_CYCLE_1)
	s_and_not1_b32 exec_lo, exec_lo, s0
	s_cbranch_execnz .LBB6_2035
.LBB6_2036:
	s_or_b32 exec_lo, exec_lo, s1
.LBB6_2037:
	s_getpc_b64 s[0:1]
	s_add_u32 s0, s0, .str.29@rel32@lo+4
	s_addc_u32 s1, s1, .str.29@rel32@hi+12
	s_getpc_b64 s[2:3]
	s_add_u32 s2, s2, .str.19@rel32@lo+4
	s_addc_u32 s3, s3, .str.19@rel32@hi+12
	s_getpc_b64 s[4:5]
	s_add_u32 s4, s4, __PRETTY_FUNCTION__._ZN7VecsMemIjLi8192EE5fetchEi@rel32@lo+4
	s_addc_u32 s5, s5, __PRETTY_FUNCTION__._ZN7VecsMemIjLi8192EE5fetchEi@rel32@hi+12
	s_waitcnt vmcnt(0)
	v_dual_mov_b32 v0, s0 :: v_dual_mov_b32 v1, s1
	v_dual_mov_b32 v2, s2 :: v_dual_mov_b32 v3, s3
	;; [unrolled: 1-line block ×3, first 2 shown]
	v_mov_b32_e32 v6, s5
	s_mov_b64 s[8:9], s[44:45]
	s_getpc_b64 s[6:7]
	s_add_u32 s6, s6, __assert_fail@rel32@lo+4
	s_addc_u32 s7, s7, __assert_fail@rel32@hi+12
	s_delay_alu instid0(SALU_CYCLE_1) | instskip(SKIP_1) | instid1(VALU_DEP_1)
	s_swappc_b64 s[30:31], s[6:7]
	v_readlane_b32 s0, v56, 29
	s_or_b32 s0, s0, exec_lo
.LBB6_2038:
	s_or_b32 exec_lo, exec_lo, s20
	v_readlane_b32 s1, v56, 29
	s_and_b32 s0, s0, exec_lo
	s_delay_alu instid0(VALU_DEP_1) | instskip(NEXT) | instid1(SALU_CYCLE_1)
	s_and_not1_b32 s1, s1, exec_lo
	s_or_b32 s49, s1, s0
	s_or_not1_b32 s0, s19, exec_lo
.LBB6_2039:
	s_or_b32 exec_lo, exec_lo, s18
	s_mov_b32 s1, 0
                                        ; implicit-def: $vgpr40
	s_and_saveexec_b32 s50, s0
	s_cbranch_execz .LBB6_2404
; %bb.2040:
	v_dual_mov_b32 v0, 0 :: v_dual_mov_b32 v67, 0
	v_mov_b32_e32 v68, 0
	s_mov_b32 s0, -1
	s_mov_b32 s51, s49
	s_clause 0x1
	scratch_store_b64 off, v[64:65], s33 offset:72
	scratch_store_b32 off, v0, s33 offset:84
	s_and_saveexec_b32 s18, s17
	s_cbranch_execz .LBB6_2186
; %bb.2041:
	flat_load_b32 v0, v[58:59]
	s_mov_b32 s17, 0
	s_mov_b32 s0, exec_lo
	v_mov_b32_e32 v67, 0
	v_mov_b32_e32 v68, 0
	s_waitcnt vmcnt(0) lgkmcnt(0)
	v_add_nc_u32_e32 v0, v0, v66
	s_delay_alu instid0(VALU_DEP_1)
	v_cmpx_gt_i32_e32 0x2001, v0
	s_xor_b32 s0, exec_lo, s0
	s_cbranch_execz .LBB6_2043
; %bb.2042:
	v_ashrrev_i32_e32 v1, 31, v0
	v_mov_b32_e32 v67, 0
	s_mov_b32 s17, exec_lo
	flat_store_b32 v[58:59], v0
	v_lshlrev_b64 v[1:2], 2, v[0:1]
	v_lshlrev_b64 v[3:4], 2, v[66:67]
	s_delay_alu instid0(VALU_DEP_2) | instskip(NEXT) | instid1(VALU_DEP_3)
	v_add_co_u32 v1, vcc_lo, v58, v1
	v_add_co_ci_u32_e32 v2, vcc_lo, v59, v2, vcc_lo
	s_delay_alu instid0(VALU_DEP_2) | instskip(NEXT) | instid1(VALU_DEP_2)
	v_sub_co_u32 v1, vcc_lo, v1, v3
	v_sub_co_ci_u32_e32 v2, vcc_lo, v2, v4, vcc_lo
	s_delay_alu instid0(VALU_DEP_2) | instskip(NEXT) | instid1(VALU_DEP_2)
	v_add_co_u32 v67, vcc_lo, v1, 4
	v_add_co_ci_u32_e32 v68, vcc_lo, 0, v2, vcc_lo
.LBB6_2043:
	s_or_saveexec_b32 s19, s0
	s_mov_b32 s0, s49
	s_xor_b32 exec_lo, exec_lo, s19
	s_cbranch_execz .LBB6_2185
; %bb.2044:
	s_load_b64 s[2:3], s[44:45], 0x50
	v_mbcnt_lo_u32_b32 v29, -1, 0
	v_mov_b32_e32 v6, 0
	v_mov_b32_e32 v7, 0
	s_delay_alu instid0(VALU_DEP_3) | instskip(NEXT) | instid1(VALU_DEP_1)
	v_readfirstlane_b32 s0, v29
	v_cmp_eq_u32_e64 s0, s0, v29
	s_delay_alu instid0(VALU_DEP_1)
	s_and_saveexec_b32 s1, s0
	s_cbranch_execz .LBB6_2050
; %bb.2045:
	v_mov_b32_e32 v0, 0
	s_mov_b32 s4, exec_lo
	s_waitcnt lgkmcnt(0)
	global_load_b64 v[3:4], v0, s[2:3] offset:24 glc
	s_waitcnt vmcnt(0)
	buffer_gl1_inv
	buffer_gl0_inv
	s_clause 0x1
	global_load_b64 v[1:2], v0, s[2:3] offset:40
	global_load_b64 v[5:6], v0, s[2:3]
	s_waitcnt vmcnt(1)
	v_and_b32_e32 v1, v1, v3
	v_and_b32_e32 v2, v2, v4
	s_delay_alu instid0(VALU_DEP_2) | instskip(NEXT) | instid1(VALU_DEP_2)
	v_mul_hi_u32 v7, v1, 24
	v_mul_lo_u32 v2, v2, 24
	v_mul_lo_u32 v1, v1, 24
	s_delay_alu instid0(VALU_DEP_2) | instskip(SKIP_1) | instid1(VALU_DEP_2)
	v_add_nc_u32_e32 v2, v7, v2
	s_waitcnt vmcnt(0)
	v_add_co_u32 v1, vcc_lo, v5, v1
	s_delay_alu instid0(VALU_DEP_2)
	v_add_co_ci_u32_e32 v2, vcc_lo, v6, v2, vcc_lo
	global_load_b64 v[1:2], v[1:2], off glc
	s_waitcnt vmcnt(0)
	global_atomic_cmpswap_b64 v[6:7], v0, v[1:4], s[2:3] offset:24 glc
	s_waitcnt vmcnt(0)
	buffer_gl1_inv
	buffer_gl0_inv
	v_cmpx_ne_u64_e64 v[6:7], v[3:4]
	s_cbranch_execz .LBB6_2049
; %bb.2046:
	s_mov_b32 s5, 0
.LBB6_2047:                             ; =>This Inner Loop Header: Depth=1
	s_sleep 1
	s_clause 0x1
	global_load_b64 v[1:2], v0, s[2:3] offset:40
	global_load_b64 v[8:9], v0, s[2:3]
	v_dual_mov_b32 v3, v6 :: v_dual_mov_b32 v4, v7
	s_waitcnt vmcnt(1)
	s_delay_alu instid0(VALU_DEP_1) | instskip(NEXT) | instid1(VALU_DEP_2)
	v_and_b32_e32 v1, v1, v3
	v_and_b32_e32 v2, v2, v4
	s_waitcnt vmcnt(0)
	s_delay_alu instid0(VALU_DEP_2) | instskip(NEXT) | instid1(VALU_DEP_1)
	v_mad_u64_u32 v[5:6], null, v1, 24, v[8:9]
	v_mov_b32_e32 v1, v6
	s_delay_alu instid0(VALU_DEP_1)
	v_mad_u64_u32 v[6:7], null, v2, 24, v[1:2]
	global_load_b64 v[1:2], v[5:6], off glc
	s_waitcnt vmcnt(0)
	global_atomic_cmpswap_b64 v[6:7], v0, v[1:4], s[2:3] offset:24 glc
	s_waitcnt vmcnt(0)
	buffer_gl1_inv
	buffer_gl0_inv
	v_cmp_eq_u64_e32 vcc_lo, v[6:7], v[3:4]
	s_or_b32 s5, vcc_lo, s5
	s_delay_alu instid0(SALU_CYCLE_1)
	s_and_not1_b32 exec_lo, exec_lo, s5
	s_cbranch_execnz .LBB6_2047
; %bb.2048:
	s_or_b32 exec_lo, exec_lo, s5
.LBB6_2049:
	s_delay_alu instid0(SALU_CYCLE_1)
	s_or_b32 exec_lo, exec_lo, s4
.LBB6_2050:
	s_delay_alu instid0(SALU_CYCLE_1)
	s_or_b32 exec_lo, exec_lo, s1
	v_mov_b32_e32 v5, 0
	v_readfirstlane_b32 s4, v6
	v_readfirstlane_b32 s5, v7
	s_mov_b32 s1, exec_lo
	s_waitcnt lgkmcnt(0)
	s_clause 0x1
	global_load_b64 v[8:9], v5, s[2:3] offset:40
	global_load_b128 v[0:3], v5, s[2:3]
	s_waitcnt vmcnt(1)
	v_readfirstlane_b32 s6, v8
	v_readfirstlane_b32 s7, v9
	s_delay_alu instid0(VALU_DEP_1) | instskip(NEXT) | instid1(SALU_CYCLE_1)
	s_and_b64 s[6:7], s[4:5], s[6:7]
	s_mul_i32 s8, s7, 24
	s_mul_hi_u32 s9, s6, 24
	s_mul_i32 s10, s6, 24
	s_add_i32 s9, s9, s8
	s_waitcnt vmcnt(0)
	v_add_co_u32 v8, vcc_lo, v0, s10
	v_add_co_ci_u32_e32 v9, vcc_lo, s9, v1, vcc_lo
	s_and_saveexec_b32 s8, s0
	s_cbranch_execz .LBB6_2052
; %bb.2051:
	v_dual_mov_b32 v4, s1 :: v_dual_mov_b32 v7, 1
	v_mov_b32_e32 v6, 2
	global_store_b128 v[8:9], v[4:7], off offset:8
.LBB6_2052:
	s_or_b32 exec_lo, exec_lo, s8
	s_lshl_b64 s[6:7], s[6:7], 12
	v_dual_mov_b32 v7, v5 :: v_dual_lshlrev_b32 v28, 6, v29
	v_add_co_u32 v2, vcc_lo, v2, s6
	v_add_co_ci_u32_e32 v3, vcc_lo, s7, v3, vcc_lo
	s_mov_b32 s8, 0
	s_delay_alu instid0(VALU_DEP_2)
	v_add_co_u32 v10, vcc_lo, v2, v28
	s_mov_b32 s11, s8
	s_mov_b32 s9, s8
	;; [unrolled: 1-line block ×3, first 2 shown]
	v_dual_mov_b32 v4, 33 :: v_dual_mov_b32 v15, s11
	v_dual_mov_b32 v6, v5 :: v_dual_mov_b32 v13, s9
	v_readfirstlane_b32 s6, v2
	v_readfirstlane_b32 s7, v3
	v_add_co_ci_u32_e32 v11, vcc_lo, 0, v3, vcc_lo
	v_mov_b32_e32 v14, s10
	v_mov_b32_e32 v12, s8
	s_clause 0x3
	global_store_b128 v28, v[4:7], s[6:7]
	global_store_b128 v28, v[12:15], s[6:7] offset:16
	global_store_b128 v28, v[12:15], s[6:7] offset:32
	;; [unrolled: 1-line block ×3, first 2 shown]
	s_and_saveexec_b32 s1, s0
	s_cbranch_execz .LBB6_2060
; %bb.2053:
	v_mov_b32_e32 v6, 0
	s_mov_b32 s6, exec_lo
	s_clause 0x1
	global_load_b64 v[14:15], v6, s[2:3] offset:32 glc
	global_load_b64 v[2:3], v6, s[2:3] offset:40
	v_dual_mov_b32 v13, s5 :: v_dual_mov_b32 v12, s4
	s_waitcnt vmcnt(0)
	v_and_b32_e32 v3, s5, v3
	v_and_b32_e32 v2, s4, v2
	s_delay_alu instid0(VALU_DEP_2) | instskip(NEXT) | instid1(VALU_DEP_2)
	v_mul_lo_u32 v3, v3, 24
	v_mul_hi_u32 v4, v2, 24
	v_mul_lo_u32 v2, v2, 24
	s_delay_alu instid0(VALU_DEP_2) | instskip(NEXT) | instid1(VALU_DEP_2)
	v_add_nc_u32_e32 v3, v4, v3
	v_add_co_u32 v4, vcc_lo, v0, v2
	s_delay_alu instid0(VALU_DEP_2)
	v_add_co_ci_u32_e32 v5, vcc_lo, v1, v3, vcc_lo
	global_store_b64 v[4:5], v[14:15], off
	s_waitcnt_vscnt null, 0x0
	global_atomic_cmpswap_b64 v[2:3], v6, v[12:15], s[2:3] offset:32 glc
	s_waitcnt vmcnt(0)
	v_cmpx_ne_u64_e64 v[2:3], v[14:15]
	s_cbranch_execz .LBB6_2056
; %bb.2054:
	s_mov_b32 s7, 0
.LBB6_2055:                             ; =>This Inner Loop Header: Depth=1
	v_dual_mov_b32 v0, s4 :: v_dual_mov_b32 v1, s5
	s_sleep 1
	global_store_b64 v[4:5], v[2:3], off
	s_waitcnt_vscnt null, 0x0
	global_atomic_cmpswap_b64 v[0:1], v6, v[0:3], s[2:3] offset:32 glc
	s_waitcnt vmcnt(0)
	v_cmp_eq_u64_e32 vcc_lo, v[0:1], v[2:3]
	v_dual_mov_b32 v3, v1 :: v_dual_mov_b32 v2, v0
	s_or_b32 s7, vcc_lo, s7
	s_delay_alu instid0(SALU_CYCLE_1)
	s_and_not1_b32 exec_lo, exec_lo, s7
	s_cbranch_execnz .LBB6_2055
.LBB6_2056:
	s_or_b32 exec_lo, exec_lo, s6
	v_mov_b32_e32 v3, 0
	s_mov_b32 s7, exec_lo
	s_mov_b32 s6, exec_lo
	v_mbcnt_lo_u32_b32 v2, s7, 0
	global_load_b64 v[0:1], v3, s[2:3] offset:16
	v_cmpx_eq_u32_e32 0, v2
	s_cbranch_execz .LBB6_2058
; %bb.2057:
	s_bcnt1_i32_b32 s7, s7
	s_delay_alu instid0(SALU_CYCLE_1)
	v_mov_b32_e32 v2, s7
	s_waitcnt vmcnt(0)
	global_atomic_add_u64 v[0:1], v[2:3], off offset:8
.LBB6_2058:
	s_or_b32 exec_lo, exec_lo, s6
	s_waitcnt vmcnt(0)
	global_load_b64 v[2:3], v[0:1], off offset:16
	s_waitcnt vmcnt(0)
	v_cmp_eq_u64_e32 vcc_lo, 0, v[2:3]
	s_cbranch_vccnz .LBB6_2060
; %bb.2059:
	global_load_b32 v0, v[0:1], off offset:24
	s_waitcnt vmcnt(0)
	v_dual_mov_b32 v1, 0 :: v_dual_and_b32 v4, 0xffffff, v0
	s_waitcnt_vscnt null, 0x0
	global_store_b64 v[2:3], v[0:1], off
	v_readfirstlane_b32 m0, v4
	s_sendmsg sendmsg(MSG_INTERRUPT)
.LBB6_2060:
	s_or_b32 exec_lo, exec_lo, s1
	s_branch .LBB6_2062
.LBB6_2061:
	s_branch .LBB6_2066
.LBB6_2062:                             ; =>This Inner Loop Header: Depth=1
	v_mov_b32_e32 v0, 1
	s_and_saveexec_b32 s1, s0
	s_cbranch_execz .LBB6_2064
; %bb.2063:                             ;   in Loop: Header=BB6_2062 Depth=1
	global_load_b32 v0, v[8:9], off offset:20 glc
	s_waitcnt vmcnt(0)
	buffer_gl1_inv
	buffer_gl0_inv
	v_and_b32_e32 v0, 1, v0
.LBB6_2064:                             ;   in Loop: Header=BB6_2062 Depth=1
	s_or_b32 exec_lo, exec_lo, s1
	s_delay_alu instid0(VALU_DEP_1) | instskip(NEXT) | instid1(VALU_DEP_1)
	v_readfirstlane_b32 s1, v0
	s_cmp_eq_u32 s1, 0
	s_cbranch_scc1 .LBB6_2061
; %bb.2065:                             ;   in Loop: Header=BB6_2062 Depth=1
	s_sleep 1
	s_cbranch_execnz .LBB6_2062
.LBB6_2066:
	global_load_b64 v[0:1], v[10:11], off
	s_and_saveexec_b32 s1, s0
	s_cbranch_execz .LBB6_2070
; %bb.2067:
	v_mov_b32_e32 v8, 0
	s_clause 0x2
	global_load_b64 v[4:5], v8, s[2:3] offset:40
	global_load_b64 v[9:10], v8, s[2:3] offset:24 glc
	global_load_b64 v[6:7], v8, s[2:3]
	s_waitcnt vmcnt(2)
	v_add_co_u32 v11, vcc_lo, v4, 1
	v_add_co_ci_u32_e32 v12, vcc_lo, 0, v5, vcc_lo
	s_delay_alu instid0(VALU_DEP_2) | instskip(NEXT) | instid1(VALU_DEP_2)
	v_add_co_u32 v2, vcc_lo, v11, s4
	v_add_co_ci_u32_e32 v3, vcc_lo, s5, v12, vcc_lo
	s_delay_alu instid0(VALU_DEP_1) | instskip(SKIP_1) | instid1(VALU_DEP_1)
	v_cmp_eq_u64_e32 vcc_lo, 0, v[2:3]
	v_dual_cndmask_b32 v3, v3, v12 :: v_dual_cndmask_b32 v2, v2, v11
	v_and_b32_e32 v5, v3, v5
	s_delay_alu instid0(VALU_DEP_2) | instskip(NEXT) | instid1(VALU_DEP_2)
	v_and_b32_e32 v4, v2, v4
	v_mul_lo_u32 v5, v5, 24
	s_delay_alu instid0(VALU_DEP_2) | instskip(SKIP_1) | instid1(VALU_DEP_2)
	v_mul_hi_u32 v11, v4, 24
	v_mul_lo_u32 v4, v4, 24
	v_add_nc_u32_e32 v5, v11, v5
	s_waitcnt vmcnt(0)
	s_delay_alu instid0(VALU_DEP_2) | instskip(SKIP_1) | instid1(VALU_DEP_3)
	v_add_co_u32 v6, vcc_lo, v6, v4
	v_mov_b32_e32 v4, v9
	v_add_co_ci_u32_e32 v7, vcc_lo, v7, v5, vcc_lo
	v_mov_b32_e32 v5, v10
	global_store_b64 v[6:7], v[9:10], off
	s_waitcnt_vscnt null, 0x0
	global_atomic_cmpswap_b64 v[4:5], v8, v[2:5], s[2:3] offset:24 glc
	s_waitcnt vmcnt(0)
	v_cmp_ne_u64_e32 vcc_lo, v[4:5], v[9:10]
	s_and_b32 exec_lo, exec_lo, vcc_lo
	s_cbranch_execz .LBB6_2070
; %bb.2068:
	s_mov_b32 s0, 0
.LBB6_2069:                             ; =>This Inner Loop Header: Depth=1
	s_sleep 1
	global_store_b64 v[6:7], v[4:5], off
	s_waitcnt_vscnt null, 0x0
	global_atomic_cmpswap_b64 v[9:10], v8, v[2:5], s[2:3] offset:24 glc
	s_waitcnt vmcnt(0)
	v_cmp_eq_u64_e32 vcc_lo, v[9:10], v[4:5]
	v_dual_mov_b32 v4, v9 :: v_dual_mov_b32 v5, v10
	s_or_b32 s0, vcc_lo, s0
	s_delay_alu instid0(SALU_CYCLE_1)
	s_and_not1_b32 exec_lo, exec_lo, s0
	s_cbranch_execnz .LBB6_2069
.LBB6_2070:
	s_or_b32 exec_lo, exec_lo, s1
	s_getpc_b64 s[4:5]
	s_add_u32 s4, s4, .str.28@rel32@lo+4
	s_addc_u32 s5, s5, .str.28@rel32@hi+12
	s_delay_alu instid0(SALU_CYCLE_1)
	s_cmp_lg_u64 s[4:5], 0
	s_cbranch_scc0 .LBB6_2155
; %bb.2071:
	s_waitcnt vmcnt(0)
	v_dual_mov_b32 v7, v1 :: v_dual_and_b32 v6, -3, v0
	v_dual_mov_b32 v3, 0 :: v_dual_mov_b32 v4, 2
	v_mov_b32_e32 v5, 1
	s_mov_b64 s[6:7], 35
	s_branch .LBB6_2073
.LBB6_2072:                             ;   in Loop: Header=BB6_2073 Depth=1
	s_or_b32 exec_lo, exec_lo, s1
	s_sub_u32 s6, s6, s8
	s_subb_u32 s7, s7, s9
	s_add_u32 s4, s4, s8
	s_addc_u32 s5, s5, s9
	s_cmp_lg_u64 s[6:7], 0
	s_cbranch_scc0 .LBB6_2154
.LBB6_2073:                             ; =>This Loop Header: Depth=1
                                        ;     Child Loop BB6_2076 Depth 2
                                        ;     Child Loop BB6_2081 Depth 2
	;; [unrolled: 1-line block ×11, first 2 shown]
	v_cmp_lt_u64_e64 s0, s[6:7], 56
	v_cmp_gt_u64_e64 s1, s[6:7], 7
                                        ; implicit-def: $sgpr14
	s_delay_alu instid0(VALU_DEP_2) | instskip(SKIP_2) | instid1(VALU_DEP_1)
	s_and_b32 s0, s0, exec_lo
	s_cselect_b32 s9, s7, 0
	s_cselect_b32 s8, s6, 56
	s_and_b32 vcc_lo, exec_lo, s1
	s_mov_b32 s0, -1
	s_cbranch_vccnz .LBB6_2083
; %bb.2074:                             ;   in Loop: Header=BB6_2073 Depth=1
	s_waitcnt vmcnt(0)
	v_mov_b32_e32 v8, 0
	v_mov_b32_e32 v9, 0
	s_cmp_eq_u64 s[6:7], 0
	s_mov_b64 s[0:1], 0
	s_cbranch_scc1 .LBB6_2077
; %bb.2075:                             ;   in Loop: Header=BB6_2073 Depth=1
	v_mov_b32_e32 v8, 0
	v_mov_b32_e32 v9, 0
	s_lshl_b64 s[10:11], s[8:9], 3
	s_mov_b64 s[12:13], s[4:5]
.LBB6_2076:                             ;   Parent Loop BB6_2073 Depth=1
                                        ; =>  This Inner Loop Header: Depth=2
	global_load_u8 v2, v3, s[12:13]
	s_waitcnt vmcnt(0)
	v_and_b32_e32 v2, 0xffff, v2
	s_delay_alu instid0(VALU_DEP_1)
	v_lshlrev_b64 v[10:11], s0, v[2:3]
	s_add_u32 s0, s0, 8
	s_addc_u32 s1, s1, 0
	s_add_u32 s12, s12, 1
	s_addc_u32 s13, s13, 0
	s_cmp_lg_u32 s10, s0
	v_or_b32_e32 v8, v10, v8
	v_or_b32_e32 v9, v11, v9
	s_cbranch_scc1 .LBB6_2076
.LBB6_2077:                             ;   in Loop: Header=BB6_2073 Depth=1
	s_mov_b32 s14, 0
	s_mov_b64 s[0:1], s[4:5]
	s_cbranch_execz .LBB6_2084
.LBB6_2078:                             ;   in Loop: Header=BB6_2073 Depth=1
	s_cmp_gt_u32 s14, 7
	s_cbranch_scc1 .LBB6_2085
.LBB6_2079:                             ;   in Loop: Header=BB6_2073 Depth=1
	v_mov_b32_e32 v10, 0
	v_mov_b32_e32 v11, 0
	s_cmp_eq_u32 s14, 0
	s_cbranch_scc1 .LBB6_2082
; %bb.2080:                             ;   in Loop: Header=BB6_2073 Depth=1
	s_mov_b64 s[10:11], 0
	s_mov_b64 s[12:13], 0
.LBB6_2081:                             ;   Parent Loop BB6_2073 Depth=1
                                        ; =>  This Inner Loop Header: Depth=2
	s_delay_alu instid0(SALU_CYCLE_1)
	s_add_u32 s20, s0, s12
	s_addc_u32 s21, s1, s13
	s_add_u32 s12, s12, 1
	global_load_u8 v2, v3, s[20:21]
	s_addc_u32 s13, s13, 0
	s_waitcnt vmcnt(0)
	v_and_b32_e32 v2, 0xffff, v2
	s_delay_alu instid0(VALU_DEP_1) | instskip(SKIP_3) | instid1(VALU_DEP_1)
	v_lshlrev_b64 v[12:13], s10, v[2:3]
	s_add_u32 s10, s10, 8
	s_addc_u32 s11, s11, 0
	s_cmp_lg_u32 s14, s12
	v_or_b32_e32 v10, v12, v10
	s_delay_alu instid0(VALU_DEP_2)
	v_or_b32_e32 v11, v13, v11
	s_cbranch_scc1 .LBB6_2081
.LBB6_2082:                             ;   in Loop: Header=BB6_2073 Depth=1
	s_mov_b32 s10, 0
	s_mov_b32 s15, 0
	s_branch .LBB6_2086
.LBB6_2083:                             ;   in Loop: Header=BB6_2073 Depth=1
	s_and_not1_b32 vcc_lo, exec_lo, s0
	s_mov_b64 s[0:1], s[4:5]
	s_cbranch_vccnz .LBB6_2078
.LBB6_2084:                             ;   in Loop: Header=BB6_2073 Depth=1
	global_load_b64 v[8:9], v3, s[4:5]
	s_add_i32 s14, s8, -8
	s_add_u32 s0, s4, 8
	s_addc_u32 s1, s5, 0
	s_cmp_gt_u32 s14, 7
	s_cbranch_scc0 .LBB6_2079
.LBB6_2085:                             ;   in Loop: Header=BB6_2073 Depth=1
	s_mov_b32 s10, -1
                                        ; implicit-def: $vgpr10_vgpr11
                                        ; implicit-def: $sgpr15
.LBB6_2086:                             ;   in Loop: Header=BB6_2073 Depth=1
	s_delay_alu instid0(SALU_CYCLE_1)
	s_and_not1_b32 vcc_lo, exec_lo, s10
	s_cbranch_vccnz .LBB6_2088
; %bb.2087:                             ;   in Loop: Header=BB6_2073 Depth=1
	global_load_b64 v[10:11], v3, s[0:1]
	s_add_i32 s15, s14, -8
	s_add_u32 s0, s0, 8
	s_addc_u32 s1, s1, 0
.LBB6_2088:                             ;   in Loop: Header=BB6_2073 Depth=1
	s_cmp_gt_u32 s15, 7
	s_cbranch_scc1 .LBB6_2093
; %bb.2089:                             ;   in Loop: Header=BB6_2073 Depth=1
	v_mov_b32_e32 v12, 0
	v_mov_b32_e32 v13, 0
	s_cmp_eq_u32 s15, 0
	s_cbranch_scc1 .LBB6_2092
; %bb.2090:                             ;   in Loop: Header=BB6_2073 Depth=1
	s_mov_b64 s[10:11], 0
	s_mov_b64 s[12:13], 0
.LBB6_2091:                             ;   Parent Loop BB6_2073 Depth=1
                                        ; =>  This Inner Loop Header: Depth=2
	s_delay_alu instid0(SALU_CYCLE_1)
	s_add_u32 s20, s0, s12
	s_addc_u32 s21, s1, s13
	s_add_u32 s12, s12, 1
	global_load_u8 v2, v3, s[20:21]
	s_addc_u32 s13, s13, 0
	s_waitcnt vmcnt(0)
	v_and_b32_e32 v2, 0xffff, v2
	s_delay_alu instid0(VALU_DEP_1) | instskip(SKIP_3) | instid1(VALU_DEP_1)
	v_lshlrev_b64 v[14:15], s10, v[2:3]
	s_add_u32 s10, s10, 8
	s_addc_u32 s11, s11, 0
	s_cmp_lg_u32 s15, s12
	v_or_b32_e32 v12, v14, v12
	s_delay_alu instid0(VALU_DEP_2)
	v_or_b32_e32 v13, v15, v13
	s_cbranch_scc1 .LBB6_2091
.LBB6_2092:                             ;   in Loop: Header=BB6_2073 Depth=1
	s_mov_b32 s10, 0
	s_mov_b32 s14, 0
	s_branch .LBB6_2094
.LBB6_2093:                             ;   in Loop: Header=BB6_2073 Depth=1
	s_mov_b32 s10, -1
                                        ; implicit-def: $sgpr14
.LBB6_2094:                             ;   in Loop: Header=BB6_2073 Depth=1
	s_delay_alu instid0(SALU_CYCLE_1)
	s_and_not1_b32 vcc_lo, exec_lo, s10
	s_cbranch_vccnz .LBB6_2096
; %bb.2095:                             ;   in Loop: Header=BB6_2073 Depth=1
	global_load_b64 v[12:13], v3, s[0:1]
	s_add_i32 s14, s15, -8
	s_add_u32 s0, s0, 8
	s_addc_u32 s1, s1, 0
.LBB6_2096:                             ;   in Loop: Header=BB6_2073 Depth=1
	s_cmp_gt_u32 s14, 7
	s_cbranch_scc1 .LBB6_2101
; %bb.2097:                             ;   in Loop: Header=BB6_2073 Depth=1
	v_mov_b32_e32 v14, 0
	v_mov_b32_e32 v15, 0
	s_cmp_eq_u32 s14, 0
	s_cbranch_scc1 .LBB6_2100
; %bb.2098:                             ;   in Loop: Header=BB6_2073 Depth=1
	s_mov_b64 s[10:11], 0
	s_mov_b64 s[12:13], 0
.LBB6_2099:                             ;   Parent Loop BB6_2073 Depth=1
                                        ; =>  This Inner Loop Header: Depth=2
	s_delay_alu instid0(SALU_CYCLE_1)
	s_add_u32 s20, s0, s12
	s_addc_u32 s21, s1, s13
	s_add_u32 s12, s12, 1
	global_load_u8 v2, v3, s[20:21]
	s_addc_u32 s13, s13, 0
	s_waitcnt vmcnt(0)
	v_and_b32_e32 v2, 0xffff, v2
	s_delay_alu instid0(VALU_DEP_1) | instskip(SKIP_3) | instid1(VALU_DEP_1)
	v_lshlrev_b64 v[16:17], s10, v[2:3]
	s_add_u32 s10, s10, 8
	s_addc_u32 s11, s11, 0
	s_cmp_lg_u32 s14, s12
	v_or_b32_e32 v14, v16, v14
	s_delay_alu instid0(VALU_DEP_2)
	v_or_b32_e32 v15, v17, v15
	s_cbranch_scc1 .LBB6_2099
.LBB6_2100:                             ;   in Loop: Header=BB6_2073 Depth=1
	s_mov_b32 s10, 0
	s_mov_b32 s15, 0
	s_branch .LBB6_2102
.LBB6_2101:                             ;   in Loop: Header=BB6_2073 Depth=1
	s_mov_b32 s10, -1
                                        ; implicit-def: $vgpr14_vgpr15
                                        ; implicit-def: $sgpr15
.LBB6_2102:                             ;   in Loop: Header=BB6_2073 Depth=1
	s_delay_alu instid0(SALU_CYCLE_1)
	s_and_not1_b32 vcc_lo, exec_lo, s10
	s_cbranch_vccnz .LBB6_2104
; %bb.2103:                             ;   in Loop: Header=BB6_2073 Depth=1
	global_load_b64 v[14:15], v3, s[0:1]
	s_add_i32 s15, s14, -8
	s_add_u32 s0, s0, 8
	s_addc_u32 s1, s1, 0
.LBB6_2104:                             ;   in Loop: Header=BB6_2073 Depth=1
	s_cmp_gt_u32 s15, 7
	s_cbranch_scc1 .LBB6_2109
; %bb.2105:                             ;   in Loop: Header=BB6_2073 Depth=1
	v_mov_b32_e32 v16, 0
	v_mov_b32_e32 v17, 0
	s_cmp_eq_u32 s15, 0
	s_cbranch_scc1 .LBB6_2108
; %bb.2106:                             ;   in Loop: Header=BB6_2073 Depth=1
	s_mov_b64 s[10:11], 0
	s_mov_b64 s[12:13], 0
.LBB6_2107:                             ;   Parent Loop BB6_2073 Depth=1
                                        ; =>  This Inner Loop Header: Depth=2
	s_delay_alu instid0(SALU_CYCLE_1)
	s_add_u32 s20, s0, s12
	s_addc_u32 s21, s1, s13
	s_add_u32 s12, s12, 1
	global_load_u8 v2, v3, s[20:21]
	s_addc_u32 s13, s13, 0
	s_waitcnt vmcnt(0)
	v_and_b32_e32 v2, 0xffff, v2
	s_delay_alu instid0(VALU_DEP_1) | instskip(SKIP_3) | instid1(VALU_DEP_1)
	v_lshlrev_b64 v[18:19], s10, v[2:3]
	s_add_u32 s10, s10, 8
	s_addc_u32 s11, s11, 0
	s_cmp_lg_u32 s15, s12
	v_or_b32_e32 v16, v18, v16
	s_delay_alu instid0(VALU_DEP_2)
	v_or_b32_e32 v17, v19, v17
	s_cbranch_scc1 .LBB6_2107
.LBB6_2108:                             ;   in Loop: Header=BB6_2073 Depth=1
	s_mov_b32 s10, 0
	s_mov_b32 s14, 0
	s_branch .LBB6_2110
.LBB6_2109:                             ;   in Loop: Header=BB6_2073 Depth=1
	s_mov_b32 s10, -1
                                        ; implicit-def: $sgpr14
.LBB6_2110:                             ;   in Loop: Header=BB6_2073 Depth=1
	s_delay_alu instid0(SALU_CYCLE_1)
	s_and_not1_b32 vcc_lo, exec_lo, s10
	s_cbranch_vccnz .LBB6_2112
; %bb.2111:                             ;   in Loop: Header=BB6_2073 Depth=1
	global_load_b64 v[16:17], v3, s[0:1]
	s_add_i32 s14, s15, -8
	s_add_u32 s0, s0, 8
	s_addc_u32 s1, s1, 0
.LBB6_2112:                             ;   in Loop: Header=BB6_2073 Depth=1
	s_cmp_gt_u32 s14, 7
	s_cbranch_scc1 .LBB6_2117
; %bb.2113:                             ;   in Loop: Header=BB6_2073 Depth=1
	v_mov_b32_e32 v18, 0
	v_mov_b32_e32 v19, 0
	s_cmp_eq_u32 s14, 0
	s_cbranch_scc1 .LBB6_2116
; %bb.2114:                             ;   in Loop: Header=BB6_2073 Depth=1
	s_mov_b64 s[10:11], 0
	s_mov_b64 s[12:13], 0
.LBB6_2115:                             ;   Parent Loop BB6_2073 Depth=1
                                        ; =>  This Inner Loop Header: Depth=2
	s_delay_alu instid0(SALU_CYCLE_1)
	s_add_u32 s20, s0, s12
	s_addc_u32 s21, s1, s13
	s_add_u32 s12, s12, 1
	global_load_u8 v2, v3, s[20:21]
	s_addc_u32 s13, s13, 0
	s_waitcnt vmcnt(0)
	v_and_b32_e32 v2, 0xffff, v2
	s_delay_alu instid0(VALU_DEP_1) | instskip(SKIP_3) | instid1(VALU_DEP_1)
	v_lshlrev_b64 v[20:21], s10, v[2:3]
	s_add_u32 s10, s10, 8
	s_addc_u32 s11, s11, 0
	s_cmp_lg_u32 s14, s12
	v_or_b32_e32 v18, v20, v18
	s_delay_alu instid0(VALU_DEP_2)
	v_or_b32_e32 v19, v21, v19
	s_cbranch_scc1 .LBB6_2115
.LBB6_2116:                             ;   in Loop: Header=BB6_2073 Depth=1
	s_mov_b32 s10, 0
	s_mov_b32 s15, 0
	s_branch .LBB6_2118
.LBB6_2117:                             ;   in Loop: Header=BB6_2073 Depth=1
	s_mov_b32 s10, -1
                                        ; implicit-def: $vgpr18_vgpr19
                                        ; implicit-def: $sgpr15
.LBB6_2118:                             ;   in Loop: Header=BB6_2073 Depth=1
	s_delay_alu instid0(SALU_CYCLE_1)
	s_and_not1_b32 vcc_lo, exec_lo, s10
	s_cbranch_vccnz .LBB6_2120
; %bb.2119:                             ;   in Loop: Header=BB6_2073 Depth=1
	global_load_b64 v[18:19], v3, s[0:1]
	s_add_i32 s15, s14, -8
	s_add_u32 s0, s0, 8
	s_addc_u32 s1, s1, 0
.LBB6_2120:                             ;   in Loop: Header=BB6_2073 Depth=1
	s_cmp_gt_u32 s15, 7
	s_cbranch_scc1 .LBB6_2125
; %bb.2121:                             ;   in Loop: Header=BB6_2073 Depth=1
	v_mov_b32_e32 v20, 0
	v_mov_b32_e32 v21, 0
	s_cmp_eq_u32 s15, 0
	s_cbranch_scc1 .LBB6_2124
; %bb.2122:                             ;   in Loop: Header=BB6_2073 Depth=1
	s_mov_b64 s[10:11], 0
	s_mov_b64 s[12:13], s[0:1]
.LBB6_2123:                             ;   Parent Loop BB6_2073 Depth=1
                                        ; =>  This Inner Loop Header: Depth=2
	global_load_u8 v2, v3, s[12:13]
	s_add_i32 s15, s15, -1
	s_waitcnt vmcnt(0)
	v_and_b32_e32 v2, 0xffff, v2
	s_delay_alu instid0(VALU_DEP_1)
	v_lshlrev_b64 v[22:23], s10, v[2:3]
	s_add_u32 s10, s10, 8
	s_addc_u32 s11, s11, 0
	s_add_u32 s12, s12, 1
	s_addc_u32 s13, s13, 0
	s_cmp_lg_u32 s15, 0
	v_or_b32_e32 v20, v22, v20
	v_or_b32_e32 v21, v23, v21
	s_cbranch_scc1 .LBB6_2123
.LBB6_2124:                             ;   in Loop: Header=BB6_2073 Depth=1
	s_mov_b32 s10, 0
	s_branch .LBB6_2126
.LBB6_2125:                             ;   in Loop: Header=BB6_2073 Depth=1
	s_mov_b32 s10, -1
.LBB6_2126:                             ;   in Loop: Header=BB6_2073 Depth=1
	s_delay_alu instid0(SALU_CYCLE_1)
	s_and_not1_b32 vcc_lo, exec_lo, s10
	s_cbranch_vccnz .LBB6_2128
; %bb.2127:                             ;   in Loop: Header=BB6_2073 Depth=1
	global_load_b64 v[20:21], v3, s[0:1]
.LBB6_2128:                             ;   in Loop: Header=BB6_2073 Depth=1
	v_readfirstlane_b32 s0, v29
	v_mov_b32_e32 v26, 0
	v_mov_b32_e32 v27, 0
	s_delay_alu instid0(VALU_DEP_3) | instskip(NEXT) | instid1(VALU_DEP_1)
	v_cmp_eq_u32_e64 s0, s0, v29
	s_and_saveexec_b32 s1, s0
	s_cbranch_execz .LBB6_2134
; %bb.2129:                             ;   in Loop: Header=BB6_2073 Depth=1
	global_load_b64 v[24:25], v3, s[2:3] offset:24 glc
	s_waitcnt vmcnt(0)
	buffer_gl1_inv
	buffer_gl0_inv
	s_clause 0x1
	global_load_b64 v[22:23], v3, s[2:3] offset:40
	global_load_b64 v[26:27], v3, s[2:3]
	s_mov_b32 s10, exec_lo
	s_waitcnt vmcnt(1)
	v_and_b32_e32 v2, v23, v25
	v_and_b32_e32 v22, v22, v24
	s_delay_alu instid0(VALU_DEP_2) | instskip(NEXT) | instid1(VALU_DEP_2)
	v_mul_lo_u32 v2, v2, 24
	v_mul_hi_u32 v23, v22, 24
	v_mul_lo_u32 v22, v22, 24
	s_delay_alu instid0(VALU_DEP_2) | instskip(SKIP_1) | instid1(VALU_DEP_2)
	v_add_nc_u32_e32 v2, v23, v2
	s_waitcnt vmcnt(0)
	v_add_co_u32 v22, vcc_lo, v26, v22
	s_delay_alu instid0(VALU_DEP_2)
	v_add_co_ci_u32_e32 v23, vcc_lo, v27, v2, vcc_lo
	global_load_b64 v[22:23], v[22:23], off glc
	s_waitcnt vmcnt(0)
	global_atomic_cmpswap_b64 v[26:27], v3, v[22:25], s[2:3] offset:24 glc
	s_waitcnt vmcnt(0)
	buffer_gl1_inv
	buffer_gl0_inv
	v_cmpx_ne_u64_e64 v[26:27], v[24:25]
	s_cbranch_execz .LBB6_2133
; %bb.2130:                             ;   in Loop: Header=BB6_2073 Depth=1
	s_mov_b32 s11, 0
.LBB6_2131:                             ;   Parent Loop BB6_2073 Depth=1
                                        ; =>  This Inner Loop Header: Depth=2
	s_sleep 1
	s_clause 0x1
	global_load_b64 v[22:23], v3, s[2:3] offset:40
	global_load_b64 v[30:31], v3, s[2:3]
	v_dual_mov_b32 v24, v26 :: v_dual_mov_b32 v25, v27
	s_waitcnt vmcnt(1)
	s_delay_alu instid0(VALU_DEP_1) | instskip(SKIP_1) | instid1(VALU_DEP_1)
	v_and_b32_e32 v2, v22, v24
	s_waitcnt vmcnt(0)
	v_mad_u64_u32 v[26:27], null, v2, 24, v[30:31]
	v_and_b32_e32 v30, v23, v25
	s_delay_alu instid0(VALU_DEP_2) | instskip(NEXT) | instid1(VALU_DEP_1)
	v_mov_b32_e32 v2, v27
	v_mad_u64_u32 v[22:23], null, v30, 24, v[2:3]
	s_delay_alu instid0(VALU_DEP_1)
	v_mov_b32_e32 v27, v22
	global_load_b64 v[22:23], v[26:27], off glc
	s_waitcnt vmcnt(0)
	global_atomic_cmpswap_b64 v[26:27], v3, v[22:25], s[2:3] offset:24 glc
	s_waitcnt vmcnt(0)
	buffer_gl1_inv
	buffer_gl0_inv
	v_cmp_eq_u64_e32 vcc_lo, v[26:27], v[24:25]
	s_or_b32 s11, vcc_lo, s11
	s_delay_alu instid0(SALU_CYCLE_1)
	s_and_not1_b32 exec_lo, exec_lo, s11
	s_cbranch_execnz .LBB6_2131
; %bb.2132:                             ;   in Loop: Header=BB6_2073 Depth=1
	s_or_b32 exec_lo, exec_lo, s11
.LBB6_2133:                             ;   in Loop: Header=BB6_2073 Depth=1
	s_delay_alu instid0(SALU_CYCLE_1)
	s_or_b32 exec_lo, exec_lo, s10
.LBB6_2134:                             ;   in Loop: Header=BB6_2073 Depth=1
	s_delay_alu instid0(SALU_CYCLE_1)
	s_or_b32 exec_lo, exec_lo, s1
	s_clause 0x1
	global_load_b64 v[30:31], v3, s[2:3] offset:40
	global_load_b128 v[22:25], v3, s[2:3]
	v_readfirstlane_b32 s10, v26
	v_readfirstlane_b32 s11, v27
	s_mov_b32 s1, exec_lo
	s_waitcnt vmcnt(1)
	v_readfirstlane_b32 s12, v30
	v_readfirstlane_b32 s13, v31
	s_delay_alu instid0(VALU_DEP_1) | instskip(NEXT) | instid1(SALU_CYCLE_1)
	s_and_b64 s[12:13], s[10:11], s[12:13]
	s_mul_i32 s14, s13, 24
	s_mul_hi_u32 s15, s12, 24
	s_mul_i32 s16, s12, 24
	s_add_i32 s15, s15, s14
	s_waitcnt vmcnt(0)
	v_add_co_u32 v26, vcc_lo, v22, s16
	v_add_co_ci_u32_e32 v27, vcc_lo, s15, v23, vcc_lo
	s_and_saveexec_b32 s14, s0
	s_cbranch_execz .LBB6_2136
; %bb.2135:                             ;   in Loop: Header=BB6_2073 Depth=1
	v_mov_b32_e32 v2, s1
	global_store_b128 v[26:27], v[2:5], off offset:8
.LBB6_2136:                             ;   in Loop: Header=BB6_2073 Depth=1
	s_or_b32 exec_lo, exec_lo, s14
	s_lshl_b64 s[12:13], s[12:13], 12
	v_or_b32_e32 v2, 2, v6
	v_add_co_u32 v24, vcc_lo, v24, s12
	v_add_co_ci_u32_e32 v25, vcc_lo, s13, v25, vcc_lo
	v_cmp_gt_u64_e64 vcc_lo, s[6:7], 56
	s_lshl_b32 s1, s8, 2
	s_delay_alu instid0(VALU_DEP_3) | instskip(SKIP_4) | instid1(VALU_DEP_1)
	v_readfirstlane_b32 s12, v24
	s_add_i32 s1, s1, 28
	v_readfirstlane_b32 s13, v25
	s_and_b32 s1, s1, 0x1e0
	v_cndmask_b32_e32 v2, v2, v6, vcc_lo
	v_and_or_b32 v6, 0xffffff1f, v2, s1
	s_clause 0x3
	global_store_b128 v28, v[6:9], s[12:13]
	global_store_b128 v28, v[10:13], s[12:13] offset:16
	global_store_b128 v28, v[14:17], s[12:13] offset:32
	;; [unrolled: 1-line block ×3, first 2 shown]
	s_and_saveexec_b32 s1, s0
	s_cbranch_execz .LBB6_2144
; %bb.2137:                             ;   in Loop: Header=BB6_2073 Depth=1
	s_clause 0x1
	global_load_b64 v[14:15], v3, s[2:3] offset:32 glc
	global_load_b64 v[6:7], v3, s[2:3] offset:40
	v_dual_mov_b32 v12, s10 :: v_dual_mov_b32 v13, s11
	s_waitcnt vmcnt(0)
	v_readfirstlane_b32 s12, v6
	v_readfirstlane_b32 s13, v7
	s_delay_alu instid0(VALU_DEP_1) | instskip(NEXT) | instid1(SALU_CYCLE_1)
	s_and_b64 s[12:13], s[12:13], s[10:11]
	s_mul_i32 s13, s13, 24
	s_mul_hi_u32 s14, s12, 24
	s_mul_i32 s12, s12, 24
	s_add_i32 s14, s14, s13
	v_add_co_u32 v10, vcc_lo, v22, s12
	v_add_co_ci_u32_e32 v11, vcc_lo, s14, v23, vcc_lo
	s_mov_b32 s12, exec_lo
	global_store_b64 v[10:11], v[14:15], off
	s_waitcnt_vscnt null, 0x0
	global_atomic_cmpswap_b64 v[8:9], v3, v[12:15], s[2:3] offset:32 glc
	s_waitcnt vmcnt(0)
	v_cmpx_ne_u64_e64 v[8:9], v[14:15]
	s_cbranch_execz .LBB6_2140
; %bb.2138:                             ;   in Loop: Header=BB6_2073 Depth=1
	s_mov_b32 s13, 0
.LBB6_2139:                             ;   Parent Loop BB6_2073 Depth=1
                                        ; =>  This Inner Loop Header: Depth=2
	v_dual_mov_b32 v6, s10 :: v_dual_mov_b32 v7, s11
	s_sleep 1
	global_store_b64 v[10:11], v[8:9], off
	s_waitcnt_vscnt null, 0x0
	global_atomic_cmpswap_b64 v[6:7], v3, v[6:9], s[2:3] offset:32 glc
	s_waitcnt vmcnt(0)
	v_cmp_eq_u64_e32 vcc_lo, v[6:7], v[8:9]
	v_dual_mov_b32 v9, v7 :: v_dual_mov_b32 v8, v6
	s_or_b32 s13, vcc_lo, s13
	s_delay_alu instid0(SALU_CYCLE_1)
	s_and_not1_b32 exec_lo, exec_lo, s13
	s_cbranch_execnz .LBB6_2139
.LBB6_2140:                             ;   in Loop: Header=BB6_2073 Depth=1
	s_or_b32 exec_lo, exec_lo, s12
	global_load_b64 v[6:7], v3, s[2:3] offset:16
	s_mov_b32 s13, exec_lo
	s_mov_b32 s12, exec_lo
	v_mbcnt_lo_u32_b32 v2, s13, 0
	s_delay_alu instid0(VALU_DEP_1)
	v_cmpx_eq_u32_e32 0, v2
	s_cbranch_execz .LBB6_2142
; %bb.2141:                             ;   in Loop: Header=BB6_2073 Depth=1
	s_bcnt1_i32_b32 s13, s13
	s_delay_alu instid0(SALU_CYCLE_1)
	v_mov_b32_e32 v2, s13
	s_waitcnt vmcnt(0)
	global_atomic_add_u64 v[6:7], v[2:3], off offset:8
.LBB6_2142:                             ;   in Loop: Header=BB6_2073 Depth=1
	s_or_b32 exec_lo, exec_lo, s12
	s_waitcnt vmcnt(0)
	global_load_b64 v[8:9], v[6:7], off offset:16
	s_waitcnt vmcnt(0)
	v_cmp_eq_u64_e32 vcc_lo, 0, v[8:9]
	s_cbranch_vccnz .LBB6_2144
; %bb.2143:                             ;   in Loop: Header=BB6_2073 Depth=1
	global_load_b32 v2, v[6:7], off offset:24
	s_waitcnt vmcnt(0)
	v_and_b32_e32 v6, 0xffffff, v2
	s_waitcnt_vscnt null, 0x0
	global_store_b64 v[8:9], v[2:3], off
	v_readfirstlane_b32 m0, v6
	s_sendmsg sendmsg(MSG_INTERRUPT)
.LBB6_2144:                             ;   in Loop: Header=BB6_2073 Depth=1
	s_or_b32 exec_lo, exec_lo, s1
	v_add_co_u32 v6, vcc_lo, v24, v28
	v_add_co_ci_u32_e32 v7, vcc_lo, 0, v25, vcc_lo
	s_branch .LBB6_2146
.LBB6_2145:                             ;   in Loop: Header=BB6_2073 Depth=1
	s_branch .LBB6_2150
.LBB6_2146:                             ;   Parent Loop BB6_2073 Depth=1
                                        ; =>  This Inner Loop Header: Depth=2
	v_mov_b32_e32 v2, 1
	s_and_saveexec_b32 s1, s0
	s_cbranch_execz .LBB6_2148
; %bb.2147:                             ;   in Loop: Header=BB6_2146 Depth=2
	global_load_b32 v2, v[26:27], off offset:20 glc
	s_waitcnt vmcnt(0)
	buffer_gl1_inv
	buffer_gl0_inv
	v_and_b32_e32 v2, 1, v2
.LBB6_2148:                             ;   in Loop: Header=BB6_2146 Depth=2
	s_or_b32 exec_lo, exec_lo, s1
	s_delay_alu instid0(VALU_DEP_1) | instskip(NEXT) | instid1(VALU_DEP_1)
	v_readfirstlane_b32 s1, v2
	s_cmp_eq_u32 s1, 0
	s_cbranch_scc1 .LBB6_2145
; %bb.2149:                             ;   in Loop: Header=BB6_2146 Depth=2
	s_sleep 1
	s_cbranch_execnz .LBB6_2146
.LBB6_2150:                             ;   in Loop: Header=BB6_2073 Depth=1
	global_load_b128 v[6:9], v[6:7], off
	s_and_saveexec_b32 s1, s0
	s_cbranch_execz .LBB6_2072
; %bb.2151:                             ;   in Loop: Header=BB6_2073 Depth=1
	s_clause 0x2
	global_load_b64 v[10:11], v3, s[2:3] offset:40
	global_load_b64 v[14:15], v3, s[2:3] offset:24 glc
	global_load_b64 v[12:13], v3, s[2:3]
	s_waitcnt vmcnt(2)
	v_add_co_u32 v2, vcc_lo, v10, 1
	v_add_co_ci_u32_e32 v16, vcc_lo, 0, v11, vcc_lo
	s_delay_alu instid0(VALU_DEP_2) | instskip(NEXT) | instid1(VALU_DEP_2)
	v_add_co_u32 v8, vcc_lo, v2, s10
	v_add_co_ci_u32_e32 v9, vcc_lo, s11, v16, vcc_lo
	s_delay_alu instid0(VALU_DEP_1) | instskip(SKIP_1) | instid1(VALU_DEP_1)
	v_cmp_eq_u64_e32 vcc_lo, 0, v[8:9]
	v_dual_cndmask_b32 v9, v9, v16 :: v_dual_cndmask_b32 v8, v8, v2
	v_and_b32_e32 v2, v9, v11
	s_delay_alu instid0(VALU_DEP_2) | instskip(NEXT) | instid1(VALU_DEP_2)
	v_and_b32_e32 v10, v8, v10
	v_mul_lo_u32 v2, v2, 24
	s_delay_alu instid0(VALU_DEP_2) | instskip(SKIP_1) | instid1(VALU_DEP_2)
	v_mul_hi_u32 v11, v10, 24
	v_mul_lo_u32 v10, v10, 24
	v_add_nc_u32_e32 v2, v11, v2
	s_waitcnt vmcnt(1)
	v_mov_b32_e32 v11, v15
	s_waitcnt vmcnt(0)
	s_delay_alu instid0(VALU_DEP_3)
	v_add_co_u32 v12, vcc_lo, v12, v10
	v_mov_b32_e32 v10, v14
	v_add_co_ci_u32_e32 v13, vcc_lo, v13, v2, vcc_lo
	global_store_b64 v[12:13], v[14:15], off
	s_waitcnt_vscnt null, 0x0
	global_atomic_cmpswap_b64 v[10:11], v3, v[8:11], s[2:3] offset:24 glc
	s_waitcnt vmcnt(0)
	v_cmp_ne_u64_e32 vcc_lo, v[10:11], v[14:15]
	s_and_b32 exec_lo, exec_lo, vcc_lo
	s_cbranch_execz .LBB6_2072
; %bb.2152:                             ;   in Loop: Header=BB6_2073 Depth=1
	s_mov_b32 s0, 0
.LBB6_2153:                             ;   Parent Loop BB6_2073 Depth=1
                                        ; =>  This Inner Loop Header: Depth=2
	s_sleep 1
	global_store_b64 v[12:13], v[10:11], off
	s_waitcnt_vscnt null, 0x0
	global_atomic_cmpswap_b64 v[14:15], v3, v[8:11], s[2:3] offset:24 glc
	s_waitcnt vmcnt(0)
	v_cmp_eq_u64_e32 vcc_lo, v[14:15], v[10:11]
	v_dual_mov_b32 v10, v14 :: v_dual_mov_b32 v11, v15
	s_or_b32 s0, vcc_lo, s0
	s_delay_alu instid0(SALU_CYCLE_1)
	s_and_not1_b32 exec_lo, exec_lo, s0
	s_cbranch_execnz .LBB6_2153
	s_branch .LBB6_2072
.LBB6_2154:
	s_mov_b32 s0, 0
	s_branch .LBB6_2156
.LBB6_2155:
	s_mov_b32 s0, -1
.LBB6_2156:
	s_delay_alu instid0(SALU_CYCLE_1)
	s_and_b32 vcc_lo, exec_lo, s0
	s_cbranch_vccz .LBB6_2184
; %bb.2157:
	v_readfirstlane_b32 s0, v29
	s_waitcnt vmcnt(0)
	v_mov_b32_e32 v8, 0
	v_mov_b32_e32 v9, 0
	s_delay_alu instid0(VALU_DEP_3) | instskip(NEXT) | instid1(VALU_DEP_1)
	v_cmp_eq_u32_e64 s0, s0, v29
	s_and_saveexec_b32 s1, s0
	s_cbranch_execz .LBB6_2163
; %bb.2158:
	v_mov_b32_e32 v2, 0
	s_mov_b32 s4, exec_lo
	global_load_b64 v[5:6], v2, s[2:3] offset:24 glc
	s_waitcnt vmcnt(0)
	buffer_gl1_inv
	buffer_gl0_inv
	s_clause 0x1
	global_load_b64 v[3:4], v2, s[2:3] offset:40
	global_load_b64 v[7:8], v2, s[2:3]
	s_waitcnt vmcnt(1)
	v_and_b32_e32 v3, v3, v5
	v_and_b32_e32 v4, v4, v6
	s_delay_alu instid0(VALU_DEP_2) | instskip(NEXT) | instid1(VALU_DEP_2)
	v_mul_hi_u32 v9, v3, 24
	v_mul_lo_u32 v4, v4, 24
	v_mul_lo_u32 v3, v3, 24
	s_delay_alu instid0(VALU_DEP_2) | instskip(SKIP_1) | instid1(VALU_DEP_2)
	v_add_nc_u32_e32 v4, v9, v4
	s_waitcnt vmcnt(0)
	v_add_co_u32 v3, vcc_lo, v7, v3
	s_delay_alu instid0(VALU_DEP_2)
	v_add_co_ci_u32_e32 v4, vcc_lo, v8, v4, vcc_lo
	global_load_b64 v[3:4], v[3:4], off glc
	s_waitcnt vmcnt(0)
	global_atomic_cmpswap_b64 v[8:9], v2, v[3:6], s[2:3] offset:24 glc
	s_waitcnt vmcnt(0)
	buffer_gl1_inv
	buffer_gl0_inv
	v_cmpx_ne_u64_e64 v[8:9], v[5:6]
	s_cbranch_execz .LBB6_2162
; %bb.2159:
	s_mov_b32 s5, 0
.LBB6_2160:                             ; =>This Inner Loop Header: Depth=1
	s_sleep 1
	s_clause 0x1
	global_load_b64 v[3:4], v2, s[2:3] offset:40
	global_load_b64 v[10:11], v2, s[2:3]
	v_dual_mov_b32 v5, v8 :: v_dual_mov_b32 v6, v9
	s_waitcnt vmcnt(1)
	s_delay_alu instid0(VALU_DEP_1) | instskip(NEXT) | instid1(VALU_DEP_2)
	v_and_b32_e32 v3, v3, v5
	v_and_b32_e32 v4, v4, v6
	s_waitcnt vmcnt(0)
	s_delay_alu instid0(VALU_DEP_2) | instskip(NEXT) | instid1(VALU_DEP_1)
	v_mad_u64_u32 v[7:8], null, v3, 24, v[10:11]
	v_mov_b32_e32 v3, v8
	s_delay_alu instid0(VALU_DEP_1)
	v_mad_u64_u32 v[8:9], null, v4, 24, v[3:4]
	global_load_b64 v[3:4], v[7:8], off glc
	s_waitcnt vmcnt(0)
	global_atomic_cmpswap_b64 v[8:9], v2, v[3:6], s[2:3] offset:24 glc
	s_waitcnt vmcnt(0)
	buffer_gl1_inv
	buffer_gl0_inv
	v_cmp_eq_u64_e32 vcc_lo, v[8:9], v[5:6]
	s_or_b32 s5, vcc_lo, s5
	s_delay_alu instid0(SALU_CYCLE_1)
	s_and_not1_b32 exec_lo, exec_lo, s5
	s_cbranch_execnz .LBB6_2160
; %bb.2161:
	s_or_b32 exec_lo, exec_lo, s5
.LBB6_2162:
	s_delay_alu instid0(SALU_CYCLE_1)
	s_or_b32 exec_lo, exec_lo, s4
.LBB6_2163:
	s_delay_alu instid0(SALU_CYCLE_1)
	s_or_b32 exec_lo, exec_lo, s1
	v_mov_b32_e32 v2, 0
	v_readfirstlane_b32 s4, v8
	v_readfirstlane_b32 s5, v9
	s_mov_b32 s1, exec_lo
	s_clause 0x1
	global_load_b64 v[10:11], v2, s[2:3] offset:40
	global_load_b128 v[4:7], v2, s[2:3]
	s_waitcnt vmcnt(1)
	v_readfirstlane_b32 s6, v10
	v_readfirstlane_b32 s7, v11
	s_delay_alu instid0(VALU_DEP_1) | instskip(NEXT) | instid1(SALU_CYCLE_1)
	s_and_b64 s[6:7], s[4:5], s[6:7]
	s_mul_i32 s8, s7, 24
	s_mul_hi_u32 s9, s6, 24
	s_mul_i32 s10, s6, 24
	s_add_i32 s9, s9, s8
	s_waitcnt vmcnt(0)
	v_add_co_u32 v8, vcc_lo, v4, s10
	v_add_co_ci_u32_e32 v9, vcc_lo, s9, v5, vcc_lo
	s_and_saveexec_b32 s8, s0
	s_cbranch_execz .LBB6_2165
; %bb.2164:
	v_dual_mov_b32 v10, s1 :: v_dual_mov_b32 v11, v2
	v_dual_mov_b32 v12, 2 :: v_dual_mov_b32 v13, 1
	global_store_b128 v[8:9], v[10:13], off offset:8
.LBB6_2165:
	s_or_b32 exec_lo, exec_lo, s8
	s_lshl_b64 s[6:7], s[6:7], 12
	s_mov_b32 s8, 0
	v_add_co_u32 v6, vcc_lo, v6, s6
	v_add_co_ci_u32_e32 v7, vcc_lo, s7, v7, vcc_lo
	s_mov_b32 s11, s8
	s_mov_b32 s9, s8
	;; [unrolled: 1-line block ×3, first 2 shown]
	v_and_or_b32 v0, 0xffffff1d, v0, 34
	v_mov_b32_e32 v3, v2
	v_readfirstlane_b32 s6, v6
	v_readfirstlane_b32 s7, v7
	v_dual_mov_b32 v13, s11 :: v_dual_mov_b32 v10, s8
	v_dual_mov_b32 v12, s10 :: v_dual_mov_b32 v11, s9
	s_clause 0x3
	global_store_b128 v28, v[0:3], s[6:7]
	global_store_b128 v28, v[10:13], s[6:7] offset:16
	global_store_b128 v28, v[10:13], s[6:7] offset:32
	;; [unrolled: 1-line block ×3, first 2 shown]
	s_and_saveexec_b32 s1, s0
	s_cbranch_execz .LBB6_2173
; %bb.2166:
	v_dual_mov_b32 v6, 0 :: v_dual_mov_b32 v11, s5
	v_mov_b32_e32 v10, s4
	s_clause 0x1
	global_load_b64 v[12:13], v6, s[2:3] offset:32 glc
	global_load_b64 v[0:1], v6, s[2:3] offset:40
	s_waitcnt vmcnt(0)
	v_readfirstlane_b32 s6, v0
	v_readfirstlane_b32 s7, v1
	s_delay_alu instid0(VALU_DEP_1) | instskip(NEXT) | instid1(SALU_CYCLE_1)
	s_and_b64 s[6:7], s[6:7], s[4:5]
	s_mul_i32 s7, s7, 24
	s_mul_hi_u32 s8, s6, 24
	s_mul_i32 s6, s6, 24
	s_add_i32 s8, s8, s7
	v_add_co_u32 v4, vcc_lo, v4, s6
	v_add_co_ci_u32_e32 v5, vcc_lo, s8, v5, vcc_lo
	s_mov_b32 s6, exec_lo
	global_store_b64 v[4:5], v[12:13], off
	s_waitcnt_vscnt null, 0x0
	global_atomic_cmpswap_b64 v[2:3], v6, v[10:13], s[2:3] offset:32 glc
	s_waitcnt vmcnt(0)
	v_cmpx_ne_u64_e64 v[2:3], v[12:13]
	s_cbranch_execz .LBB6_2169
; %bb.2167:
	s_mov_b32 s7, 0
.LBB6_2168:                             ; =>This Inner Loop Header: Depth=1
	v_dual_mov_b32 v0, s4 :: v_dual_mov_b32 v1, s5
	s_sleep 1
	global_store_b64 v[4:5], v[2:3], off
	s_waitcnt_vscnt null, 0x0
	global_atomic_cmpswap_b64 v[0:1], v6, v[0:3], s[2:3] offset:32 glc
	s_waitcnt vmcnt(0)
	v_cmp_eq_u64_e32 vcc_lo, v[0:1], v[2:3]
	v_dual_mov_b32 v3, v1 :: v_dual_mov_b32 v2, v0
	s_or_b32 s7, vcc_lo, s7
	s_delay_alu instid0(SALU_CYCLE_1)
	s_and_not1_b32 exec_lo, exec_lo, s7
	s_cbranch_execnz .LBB6_2168
.LBB6_2169:
	s_or_b32 exec_lo, exec_lo, s6
	v_mov_b32_e32 v3, 0
	s_mov_b32 s7, exec_lo
	s_mov_b32 s6, exec_lo
	v_mbcnt_lo_u32_b32 v2, s7, 0
	global_load_b64 v[0:1], v3, s[2:3] offset:16
	v_cmpx_eq_u32_e32 0, v2
	s_cbranch_execz .LBB6_2171
; %bb.2170:
	s_bcnt1_i32_b32 s7, s7
	s_delay_alu instid0(SALU_CYCLE_1)
	v_mov_b32_e32 v2, s7
	s_waitcnt vmcnt(0)
	global_atomic_add_u64 v[0:1], v[2:3], off offset:8
.LBB6_2171:
	s_or_b32 exec_lo, exec_lo, s6
	s_waitcnt vmcnt(0)
	global_load_b64 v[2:3], v[0:1], off offset:16
	s_waitcnt vmcnt(0)
	v_cmp_eq_u64_e32 vcc_lo, 0, v[2:3]
	s_cbranch_vccnz .LBB6_2173
; %bb.2172:
	global_load_b32 v0, v[0:1], off offset:24
	s_waitcnt vmcnt(0)
	v_dual_mov_b32 v1, 0 :: v_dual_and_b32 v4, 0xffffff, v0
	s_waitcnt_vscnt null, 0x0
	global_store_b64 v[2:3], v[0:1], off
	v_readfirstlane_b32 m0, v4
	s_sendmsg sendmsg(MSG_INTERRUPT)
.LBB6_2173:
	s_or_b32 exec_lo, exec_lo, s1
	s_branch .LBB6_2175
.LBB6_2174:
	s_branch .LBB6_2179
.LBB6_2175:                             ; =>This Inner Loop Header: Depth=1
	v_mov_b32_e32 v0, 1
	s_and_saveexec_b32 s1, s0
	s_cbranch_execz .LBB6_2177
; %bb.2176:                             ;   in Loop: Header=BB6_2175 Depth=1
	global_load_b32 v0, v[8:9], off offset:20 glc
	s_waitcnt vmcnt(0)
	buffer_gl1_inv
	buffer_gl0_inv
	v_and_b32_e32 v0, 1, v0
.LBB6_2177:                             ;   in Loop: Header=BB6_2175 Depth=1
	s_or_b32 exec_lo, exec_lo, s1
	s_delay_alu instid0(VALU_DEP_1) | instskip(NEXT) | instid1(VALU_DEP_1)
	v_readfirstlane_b32 s1, v0
	s_cmp_eq_u32 s1, 0
	s_cbranch_scc1 .LBB6_2174
; %bb.2178:                             ;   in Loop: Header=BB6_2175 Depth=1
	s_sleep 1
	s_cbranch_execnz .LBB6_2175
.LBB6_2179:
	s_and_saveexec_b32 s1, s0
	s_cbranch_execz .LBB6_2183
; %bb.2180:
	v_mov_b32_e32 v6, 0
	s_clause 0x2
	global_load_b64 v[2:3], v6, s[2:3] offset:40
	global_load_b64 v[7:8], v6, s[2:3] offset:24 glc
	global_load_b64 v[4:5], v6, s[2:3]
	s_waitcnt vmcnt(2)
	v_add_co_u32 v9, vcc_lo, v2, 1
	v_add_co_ci_u32_e32 v10, vcc_lo, 0, v3, vcc_lo
	s_delay_alu instid0(VALU_DEP_2) | instskip(NEXT) | instid1(VALU_DEP_2)
	v_add_co_u32 v0, vcc_lo, v9, s4
	v_add_co_ci_u32_e32 v1, vcc_lo, s5, v10, vcc_lo
	s_delay_alu instid0(VALU_DEP_1) | instskip(SKIP_1) | instid1(VALU_DEP_1)
	v_cmp_eq_u64_e32 vcc_lo, 0, v[0:1]
	v_dual_cndmask_b32 v1, v1, v10 :: v_dual_cndmask_b32 v0, v0, v9
	v_and_b32_e32 v3, v1, v3
	s_delay_alu instid0(VALU_DEP_2) | instskip(NEXT) | instid1(VALU_DEP_2)
	v_and_b32_e32 v2, v0, v2
	v_mul_lo_u32 v3, v3, 24
	s_delay_alu instid0(VALU_DEP_2) | instskip(SKIP_1) | instid1(VALU_DEP_2)
	v_mul_hi_u32 v9, v2, 24
	v_mul_lo_u32 v2, v2, 24
	v_add_nc_u32_e32 v3, v9, v3
	s_waitcnt vmcnt(0)
	s_delay_alu instid0(VALU_DEP_2) | instskip(SKIP_1) | instid1(VALU_DEP_3)
	v_add_co_u32 v4, vcc_lo, v4, v2
	v_mov_b32_e32 v2, v7
	v_add_co_ci_u32_e32 v5, vcc_lo, v5, v3, vcc_lo
	v_mov_b32_e32 v3, v8
	global_store_b64 v[4:5], v[7:8], off
	s_waitcnt_vscnt null, 0x0
	global_atomic_cmpswap_b64 v[2:3], v6, v[0:3], s[2:3] offset:24 glc
	s_waitcnt vmcnt(0)
	v_cmp_ne_u64_e32 vcc_lo, v[2:3], v[7:8]
	s_and_b32 exec_lo, exec_lo, vcc_lo
	s_cbranch_execz .LBB6_2183
; %bb.2181:
	s_mov_b32 s0, 0
.LBB6_2182:                             ; =>This Inner Loop Header: Depth=1
	s_sleep 1
	global_store_b64 v[4:5], v[2:3], off
	s_waitcnt_vscnt null, 0x0
	global_atomic_cmpswap_b64 v[7:8], v6, v[0:3], s[2:3] offset:24 glc
	s_waitcnt vmcnt(0)
	v_cmp_eq_u64_e32 vcc_lo, v[7:8], v[2:3]
	v_dual_mov_b32 v2, v7 :: v_dual_mov_b32 v3, v8
	s_or_b32 s0, vcc_lo, s0
	s_delay_alu instid0(SALU_CYCLE_1)
	s_and_not1_b32 exec_lo, exec_lo, s0
	s_cbranch_execnz .LBB6_2182
.LBB6_2183:
	s_or_b32 exec_lo, exec_lo, s1
.LBB6_2184:
	s_getpc_b64 s[0:1]
	s_add_u32 s0, s0, .str.29@rel32@lo+4
	s_addc_u32 s1, s1, .str.29@rel32@hi+12
	s_getpc_b64 s[2:3]
	s_add_u32 s2, s2, .str.19@rel32@lo+4
	s_addc_u32 s3, s3, .str.19@rel32@hi+12
	s_getpc_b64 s[4:5]
	s_add_u32 s4, s4, __PRETTY_FUNCTION__._ZN7VecsMemIjLi8192EE5fetchEi@rel32@lo+4
	s_addc_u32 s5, s5, __PRETTY_FUNCTION__._ZN7VecsMemIjLi8192EE5fetchEi@rel32@hi+12
	s_waitcnt vmcnt(0)
	v_dual_mov_b32 v0, s0 :: v_dual_mov_b32 v1, s1
	v_dual_mov_b32 v2, s2 :: v_dual_mov_b32 v3, s3
	;; [unrolled: 1-line block ×3, first 2 shown]
	v_mov_b32_e32 v6, s5
	s_mov_b64 s[8:9], s[44:45]
	s_getpc_b64 s[6:7]
	s_add_u32 s6, s6, __assert_fail@rel32@lo+4
	s_addc_u32 s7, s7, __assert_fail@rel32@hi+12
	s_delay_alu instid0(SALU_CYCLE_1)
	s_swappc_b64 s[30:31], s[6:7]
	s_or_b32 s0, s49, exec_lo
.LBB6_2185:
	s_or_b32 exec_lo, exec_lo, s19
	s_delay_alu instid0(SALU_CYCLE_1) | instskip(SKIP_1) | instid1(SALU_CYCLE_1)
	s_and_not1_b32 s1, s49, exec_lo
	s_and_b32 s0, s0, exec_lo
	s_or_b32 s51, s1, s0
	s_or_not1_b32 s0, s17, exec_lo
.LBB6_2186:
	s_or_b32 exec_lo, exec_lo, s18
	s_mov_b32 s1, 0
                                        ; implicit-def: $vgpr40
	s_and_saveexec_b32 s52, s0
	s_cbranch_execz .LBB6_2403
; %bb.2187:
	s_mov_b32 s2, exec_lo
	scratch_store_b64 off, v[67:68], s33 offset:88
	v_cmpx_lt_i32_e32 0, v66
	s_cbranch_execz .LBB6_2190
; %bb.2188:
	s_add_i32 s0, s33, 64
	v_not_b32_e32 v0, v69
	v_mov_b32_e32 v1, s0
	s_mov_b32 s3, 0
	s_set_inst_prefetch_distance 0x1
.LBB6_2189:                             ; =>This Inner Loop Header: Depth=1
	flat_load_b32 v4, v[62:63]
	s_add_i32 s0, s33, 0x50
	s_add_i32 s3, s3, 1
	s_waitcnt vmcnt(0) lgkmcnt(0)
	v_and_b32_e32 v2, v4, v69
	s_delay_alu instid0(VALU_DEP_1)
	v_cmp_eq_u32_e32 vcc_lo, 0, v2
	v_cndmask_b32_e64 v5, v1, s0, vcc_lo
	v_cndmask_b32_e64 v8, v0, -1, vcc_lo
	v_dual_cndmask_b32 v6, v65, v68 :: v_dual_cndmask_b32 v7, v64, v67
	v_add_co_u32 v62, s0, v62, 4
	scratch_load_b32 v2, v5, off offset:4
	v_and_b32_e32 v8, v8, v4
	v_add_co_ci_u32_e64 v63, s0, 0, v63, s0
	s_waitcnt vmcnt(0)
	v_ashrrev_i32_e32 v3, 31, v2
	v_add_nc_u32_e32 v9, 1, v2
	s_delay_alu instid0(VALU_DEP_2) | instskip(NEXT) | instid1(VALU_DEP_1)
	v_lshlrev_b64 v[3:4], 2, v[2:3]
	v_add_co_u32 v2, vcc_lo, v7, v3
	s_delay_alu instid0(VALU_DEP_2)
	v_add_co_ci_u32_e32 v3, vcc_lo, v6, v4, vcc_lo
	scratch_store_b32 v5, v9, off offset:4
	flat_store_b32 v[2:3], v8
	flat_load_b32 v2, v[60:61] offset:4
	s_waitcnt vmcnt(0) lgkmcnt(0)
	v_cmp_ge_i32_e32 vcc_lo, s3, v2
	s_or_b32 s1, vcc_lo, s1
	s_delay_alu instid0(SALU_CYCLE_1)
	s_and_not1_b32 exec_lo, exec_lo, s1
	s_cbranch_execnz .LBB6_2189
.LBB6_2190:
	s_set_inst_prefetch_distance 0x2
	s_or_b32 exec_lo, exec_lo, s2
	flat_load_b32 v0, v[53:54]
	v_dual_mov_b32 v1, 0 :: v_dual_mov_b32 v2, v41
	v_dual_mov_b32 v3, v44 :: v_dual_mov_b32 v4, v45
	s_mov_b64 s[8:9], s[44:45]
	s_mov_b64 s[54:55], src_private_base
	s_getpc_b64 s[0:1]
	s_add_u32 s0, s0, _ZN3sop23sopFactorTrivialCubeRecEjiiPN8subgUtil4SubgILi256EEE@rel32@lo+4
	s_addc_u32 s1, s1, _ZN3sop23sopFactorTrivialCubeRecEjiiPN8subgUtil4SubgILi256EEE@rel32@hi+12
	s_delay_alu instid0(SALU_CYCLE_1)
	s_swappc_b64 s[30:31], s[0:1]
	s_getpc_b64 s[0:1]
	s_add_u32 s0, s0, _ZN3sop12sopFactorRecEPNS_3SopEiP7VecsMemIjLi8192EEPN8subgUtil4SubgILi256EEE@rel32@lo+4
	s_addc_u32 s1, s1, _ZN3sop12sopFactorRecEPNS_3SopEiP7VecsMemIjLi8192EEPN8subgUtil4SubgILi256EEE@rel32@hi+12
	s_add_i32 s2, s33, 64
	v_dual_mov_b32 v42, v0 :: v_dual_mov_b32 v1, s55
	v_dual_mov_b32 v0, s2 :: v_dual_mov_b32 v3, v58
	;; [unrolled: 1-line block ×3, first 2 shown]
	v_mov_b32_e32 v4, v59
	v_mov_b32_e32 v6, v45
	s_mov_b64 s[8:9], s[44:45]
	s_swappc_b64 s[30:31], s[0:1]
	flat_load_b32 v1, v[44:45]
	s_mov_b32 s34, s51
	s_mov_b32 s0, exec_lo
	s_waitcnt vmcnt(0) lgkmcnt(0)
	v_cmpx_lt_i32_e32 0xff, v1
	s_xor_b32 s17, exec_lo, s0
	s_cbranch_execz .LBB6_2192
; %bb.2191:
	s_getpc_b64 s[0:1]
	s_add_u32 s0, s0, .str.43@rel32@lo+4
	s_addc_u32 s1, s1, .str.43@rel32@hi+12
	s_getpc_b64 s[2:3]
	s_add_u32 s2, s2, .str.44@rel32@lo+4
	s_addc_u32 s3, s3, .str.44@rel32@hi+12
	s_getpc_b64 s[4:5]
	s_add_u32 s4, s4, __PRETTY_FUNCTION__._ZN8subgUtil4SubgILi256EE10addNodeAndEii@rel32@lo+4
	s_addc_u32 s5, s5, __PRETTY_FUNCTION__._ZN8subgUtil4SubgILi256EE10addNodeAndEii@rel32@hi+12
	v_dual_mov_b32 v0, s0 :: v_dual_mov_b32 v1, s1
	v_dual_mov_b32 v2, s2 :: v_dual_mov_b32 v3, s3
	v_dual_mov_b32 v4, 60 :: v_dual_mov_b32 v5, s4
	v_mov_b32_e32 v6, s5
	s_mov_b64 s[8:9], s[44:45]
	s_getpc_b64 s[6:7]
	s_add_u32 s6, s6, __assert_fail@rel32@lo+4
	s_addc_u32 s7, s7, __assert_fail@rel32@hi+12
	s_delay_alu instid0(SALU_CYCLE_1)
	s_swappc_b64 s[30:31], s[6:7]
	s_or_b32 s34, s51, exec_lo
                                        ; implicit-def: $vgpr1
                                        ; implicit-def: $vgpr42
                                        ; implicit-def: $vgpr0
                                        ; implicit-def: $vgpr44_vgpr45
                                        ; implicit-def: $vgpr41
                                        ; implicit-def: $vgpr58
.LBB6_2192:
	s_or_saveexec_b32 s35, s17
	s_mov_b32 s0, 0
                                        ; implicit-def: $vgpr40
	s_xor_b32 exec_lo, exec_lo, s35
	s_cbranch_execz .LBB6_2402
; %bb.2193:
	v_or_b32_e32 v2, v0, v42
	s_mov_b32 s0, -1
	s_mov_b32 s17, 0
	s_mov_b32 s18, s34
                                        ; implicit-def: $vgpr40
	s_mov_b32 s1, exec_lo
	v_cmpx_lt_i32_e32 -1, v2
	s_xor_b32 s36, exec_lo, s1
	s_cbranch_execz .LBB6_2399
; %bb.2194:
	scratch_load_b32 v6, off, s33 offset:84
	v_ashrrev_i32_e32 v2, 31, v1
	v_max_i32_e32 v4, v42, v0
	v_min_i32_e32 v5, v42, v0
	v_add_nc_u32_e32 v0, 1, v1
	v_lshlrev_b32_e32 v40, 1, v1
	v_lshlrev_b64 v[2:3], 3, v[1:2]
	v_lshlrev_b32_e32 v4, 1, v4
	s_mov_b32 s37, 0
	s_mov_b32 s1, s34
	s_mov_b32 s38, exec_lo
	s_delay_alu instid0(VALU_DEP_2)
	v_add_co_u32 v2, vcc_lo, v44, v2
	v_add_co_ci_u32_e32 v3, vcc_lo, v45, v3, vcc_lo
	s_clause 0x1
	flat_store_b32 v[44:45], v0
	flat_store_b64 v[2:3], v[4:5] offset:8
	s_waitcnt vmcnt(0)
	v_cmpx_ne_u32_e32 0, v6
	s_cbranch_execz .LBB6_2396
; %bb.2195:
	s_mov_b64 s[0:1], src_private_base
	s_getpc_b64 s[2:3]
	s_add_u32 s2, s2, _ZN3sop12sopFactorRecEPNS_3SopEiP7VecsMemIjLi8192EEPN8subgUtil4SubgILi256EEE@rel32@lo+4
	s_addc_u32 s3, s3, _ZN3sop12sopFactorRecEPNS_3SopEiP7VecsMemIjLi8192EEPN8subgUtil4SubgILi256EEE@rel32@hi+12
	s_add_i32 s0, s33, 0x50
	s_delay_alu instid0(SALU_CYCLE_1)
	v_dual_mov_b32 v1, s1 :: v_dual_mov_b32 v0, s0
	v_dual_mov_b32 v2, v41 :: v_dual_mov_b32 v3, v58
	;; [unrolled: 1-line block ×3, first 2 shown]
	v_mov_b32_e32 v6, v45
	s_mov_b64 s[8:9], s[44:45]
	s_swappc_b64 s[30:31], s[2:3]
	flat_load_b32 v1, v[44:45]
	s_mov_b32 s17, s34
	s_mov_b32 s0, exec_lo
	s_waitcnt vmcnt(0) lgkmcnt(0)
	v_cmpx_lt_i32_e32 0xff, v1
	s_xor_b32 s18, exec_lo, s0
	s_cbranch_execz .LBB6_2197
; %bb.2196:
	s_getpc_b64 s[0:1]
	s_add_u32 s0, s0, .str.43@rel32@lo+4
	s_addc_u32 s1, s1, .str.43@rel32@hi+12
	s_getpc_b64 s[2:3]
	s_add_u32 s2, s2, .str.44@rel32@lo+4
	s_addc_u32 s3, s3, .str.44@rel32@hi+12
	s_getpc_b64 s[4:5]
	s_add_u32 s4, s4, __PRETTY_FUNCTION__._ZN8subgUtil4SubgILi256EE9addNodeOrEii@rel32@lo+4
	s_addc_u32 s5, s5, __PRETTY_FUNCTION__._ZN8subgUtil4SubgILi256EE9addNodeOrEii@rel32@hi+12
	v_dual_mov_b32 v0, s0 :: v_dual_mov_b32 v1, s1
	v_dual_mov_b32 v2, s2 :: v_dual_mov_b32 v3, s3
	;; [unrolled: 1-line block ×3, first 2 shown]
	v_mov_b32_e32 v6, s5
	s_mov_b64 s[8:9], s[44:45]
	s_getpc_b64 s[6:7]
	s_add_u32 s6, s6, __assert_fail@rel32@lo+4
	s_addc_u32 s7, s7, __assert_fail@rel32@hi+12
	s_delay_alu instid0(SALU_CYCLE_1)
	s_swappc_b64 s[30:31], s[6:7]
	s_or_b32 s17, s34, exec_lo
                                        ; implicit-def: $vgpr0
                                        ; implicit-def: $vgpr40
                                        ; implicit-def: $vgpr44_vgpr45
.LBB6_2197:
	s_or_saveexec_b32 s18, s18
	s_mov_b32 s0, 0
	s_xor_b32 exec_lo, exec_lo, s18
	s_cbranch_execz .LBB6_2395
; %bb.2198:
	v_min_i32_e32 v37, v40, v0
	v_max_i32_e32 v3, v40, v0
	s_delay_alu instid0(VALU_DEP_2) | instskip(NEXT) | instid1(VALU_DEP_2)
	v_xor_b32_e32 v33, 1, v37
	v_xor_b32_e32 v34, 1, v3
	s_delay_alu instid0(VALU_DEP_1) | instskip(NEXT) | instid1(VALU_DEP_1)
	v_cmp_gt_i32_e64 s0, v33, v34
	s_and_saveexec_b32 s16, s0
	s_cbranch_execz .LBB6_2390
; %bb.2199:
	s_load_b64 s[4:5], s[44:45], 0x50
	v_mbcnt_lo_u32_b32 v36, -1, 0
	v_mov_b32_e32 v1, 0
	v_mov_b32_e32 v2, 0
	s_delay_alu instid0(VALU_DEP_3) | instskip(NEXT) | instid1(VALU_DEP_1)
	v_readfirstlane_b32 s1, v36
	v_cmp_eq_u32_e64 s1, s1, v36
	s_delay_alu instid0(VALU_DEP_1)
	s_and_saveexec_b32 s2, s1
	s_cbranch_execz .LBB6_2205
; %bb.2200:
	v_mov_b32_e32 v4, 0
	s_mov_b32 s3, exec_lo
	s_waitcnt lgkmcnt(0)
	global_load_b64 v[7:8], v4, s[4:5] offset:24 glc
	s_waitcnt vmcnt(0)
	buffer_gl1_inv
	buffer_gl0_inv
	s_clause 0x1
	global_load_b64 v[1:2], v4, s[4:5] offset:40
	global_load_b64 v[5:6], v4, s[4:5]
	s_waitcnt vmcnt(1)
	v_and_b32_e32 v1, v1, v7
	v_and_b32_e32 v2, v2, v8
	s_delay_alu instid0(VALU_DEP_2) | instskip(NEXT) | instid1(VALU_DEP_2)
	v_mul_hi_u32 v9, v1, 24
	v_mul_lo_u32 v2, v2, 24
	v_mul_lo_u32 v1, v1, 24
	s_delay_alu instid0(VALU_DEP_2) | instskip(SKIP_1) | instid1(VALU_DEP_2)
	v_add_nc_u32_e32 v2, v9, v2
	s_waitcnt vmcnt(0)
	v_add_co_u32 v1, vcc_lo, v5, v1
	s_delay_alu instid0(VALU_DEP_2)
	v_add_co_ci_u32_e32 v2, vcc_lo, v6, v2, vcc_lo
	global_load_b64 v[5:6], v[1:2], off glc
	s_waitcnt vmcnt(0)
	global_atomic_cmpswap_b64 v[1:2], v4, v[5:8], s[4:5] offset:24 glc
	s_waitcnt vmcnt(0)
	buffer_gl1_inv
	buffer_gl0_inv
	v_cmpx_ne_u64_e64 v[1:2], v[7:8]
	s_cbranch_execz .LBB6_2204
; %bb.2201:
	s_mov_b32 s6, 0
.LBB6_2202:                             ; =>This Inner Loop Header: Depth=1
	s_sleep 1
	s_clause 0x1
	global_load_b64 v[5:6], v4, s[4:5] offset:40
	global_load_b64 v[9:10], v4, s[4:5]
	v_dual_mov_b32 v8, v2 :: v_dual_mov_b32 v7, v1
	s_waitcnt vmcnt(1)
	s_delay_alu instid0(VALU_DEP_1) | instskip(SKIP_1) | instid1(VALU_DEP_1)
	v_and_b32_e32 v5, v5, v7
	s_waitcnt vmcnt(0)
	v_mad_u64_u32 v[1:2], null, v5, 24, v[9:10]
	v_and_b32_e32 v9, v6, v8
	s_delay_alu instid0(VALU_DEP_1) | instskip(NEXT) | instid1(VALU_DEP_1)
	v_mad_u64_u32 v[5:6], null, v9, 24, v[2:3]
	v_mov_b32_e32 v2, v5
	global_load_b64 v[5:6], v[1:2], off glc
	s_waitcnt vmcnt(0)
	global_atomic_cmpswap_b64 v[1:2], v4, v[5:8], s[4:5] offset:24 glc
	s_waitcnt vmcnt(0)
	buffer_gl1_inv
	buffer_gl0_inv
	v_cmp_eq_u64_e32 vcc_lo, v[1:2], v[7:8]
	s_or_b32 s6, vcc_lo, s6
	s_delay_alu instid0(SALU_CYCLE_1)
	s_and_not1_b32 exec_lo, exec_lo, s6
	s_cbranch_execnz .LBB6_2202
; %bb.2203:
	s_or_b32 exec_lo, exec_lo, s6
.LBB6_2204:
	s_delay_alu instid0(SALU_CYCLE_1)
	s_or_b32 exec_lo, exec_lo, s3
.LBB6_2205:
	s_delay_alu instid0(SALU_CYCLE_1)
	s_or_b32 exec_lo, exec_lo, s2
	v_mov_b32_e32 v9, 0
	v_readfirstlane_b32 s2, v1
	v_readfirstlane_b32 s3, v2
	s_mov_b32 s8, exec_lo
	s_waitcnt lgkmcnt(0)
	s_clause 0x1
	global_load_b64 v[10:11], v9, s[4:5] offset:40
	global_load_b128 v[4:7], v9, s[4:5]
	s_waitcnt vmcnt(1)
	v_readfirstlane_b32 s6, v10
	v_readfirstlane_b32 s7, v11
	s_delay_alu instid0(VALU_DEP_1) | instskip(NEXT) | instid1(SALU_CYCLE_1)
	s_and_b64 s[6:7], s[2:3], s[6:7]
	s_mul_i32 s9, s7, 24
	s_mul_hi_u32 s10, s6, 24
	s_mul_i32 s11, s6, 24
	s_add_i32 s10, s10, s9
	s_waitcnt vmcnt(0)
	v_add_co_u32 v1, vcc_lo, v4, s11
	v_add_co_ci_u32_e32 v2, vcc_lo, s10, v5, vcc_lo
	s_and_saveexec_b32 s9, s1
	s_cbranch_execz .LBB6_2207
; %bb.2206:
	v_dual_mov_b32 v8, s8 :: v_dual_mov_b32 v11, 1
	v_mov_b32_e32 v10, 2
	global_store_b128 v[1:2], v[8:11], off offset:8
.LBB6_2207:
	s_or_b32 exec_lo, exec_lo, s9
	s_lshl_b64 s[6:7], s[6:7], 12
	v_dual_mov_b32 v8, 33 :: v_dual_lshlrev_b32 v35, 6, v36
	v_add_co_u32 v6, vcc_lo, v6, s6
	v_add_co_ci_u32_e32 v7, vcc_lo, s7, v7, vcc_lo
	s_mov_b32 s8, 0
	s_delay_alu instid0(VALU_DEP_2)
	v_add_co_u32 v12, vcc_lo, v6, v35
	s_mov_b32 s11, s8
	s_mov_b32 s9, s8
	;; [unrolled: 1-line block ×3, first 2 shown]
	v_dual_mov_b32 v10, v9 :: v_dual_mov_b32 v17, s11
	v_dual_mov_b32 v11, v9 :: v_dual_mov_b32 v16, s10
	v_readfirstlane_b32 s6, v6
	v_readfirstlane_b32 s7, v7
	v_add_co_ci_u32_e32 v13, vcc_lo, 0, v7, vcc_lo
	v_dual_mov_b32 v15, s9 :: v_dual_mov_b32 v14, s8
	s_clause 0x3
	global_store_b128 v35, v[8:11], s[6:7]
	global_store_b128 v35, v[14:17], s[6:7] offset:16
	global_store_b128 v35, v[14:17], s[6:7] offset:32
	;; [unrolled: 1-line block ×3, first 2 shown]
	s_and_saveexec_b32 s6, s1
	s_cbranch_execz .LBB6_2214
; %bb.2208:
	v_mov_b32_e32 v10, 0
	s_mov_b32 s7, exec_lo
	s_clause 0x1
	global_load_b64 v[16:17], v10, s[4:5] offset:32 glc
	global_load_b64 v[6:7], v10, s[4:5] offset:40
	v_dual_mov_b32 v15, s3 :: v_dual_mov_b32 v14, s2
	s_waitcnt vmcnt(0)
	v_and_b32_e32 v7, s3, v7
	v_and_b32_e32 v6, s2, v6
	s_delay_alu instid0(VALU_DEP_2) | instskip(NEXT) | instid1(VALU_DEP_2)
	v_mul_lo_u32 v7, v7, 24
	v_mul_hi_u32 v8, v6, 24
	v_mul_lo_u32 v6, v6, 24
	s_delay_alu instid0(VALU_DEP_2) | instskip(NEXT) | instid1(VALU_DEP_2)
	v_add_nc_u32_e32 v7, v8, v7
	v_add_co_u32 v8, vcc_lo, v4, v6
	s_delay_alu instid0(VALU_DEP_2)
	v_add_co_ci_u32_e32 v9, vcc_lo, v5, v7, vcc_lo
	global_store_b64 v[8:9], v[16:17], off
	s_waitcnt_vscnt null, 0x0
	global_atomic_cmpswap_b64 v[6:7], v10, v[14:17], s[4:5] offset:32 glc
	s_waitcnt vmcnt(0)
	v_cmpx_ne_u64_e64 v[6:7], v[16:17]
	s_cbranch_execz .LBB6_2210
.LBB6_2209:                             ; =>This Inner Loop Header: Depth=1
	v_dual_mov_b32 v4, s2 :: v_dual_mov_b32 v5, s3
	s_sleep 1
	global_store_b64 v[8:9], v[6:7], off
	s_waitcnt_vscnt null, 0x0
	global_atomic_cmpswap_b64 v[4:5], v10, v[4:7], s[4:5] offset:32 glc
	s_waitcnt vmcnt(0)
	v_cmp_eq_u64_e32 vcc_lo, v[4:5], v[6:7]
	v_dual_mov_b32 v7, v5 :: v_dual_mov_b32 v6, v4
	s_or_b32 s8, vcc_lo, s8
	s_delay_alu instid0(SALU_CYCLE_1)
	s_and_not1_b32 exec_lo, exec_lo, s8
	s_cbranch_execnz .LBB6_2209
.LBB6_2210:
	s_or_b32 exec_lo, exec_lo, s7
	v_mov_b32_e32 v7, 0
	s_mov_b32 s8, exec_lo
	s_mov_b32 s7, exec_lo
	v_mbcnt_lo_u32_b32 v6, s8, 0
	global_load_b64 v[4:5], v7, s[4:5] offset:16
	v_cmpx_eq_u32_e32 0, v6
	s_cbranch_execz .LBB6_2212
; %bb.2211:
	s_bcnt1_i32_b32 s8, s8
	s_delay_alu instid0(SALU_CYCLE_1)
	v_mov_b32_e32 v6, s8
	s_waitcnt vmcnt(0)
	global_atomic_add_u64 v[4:5], v[6:7], off offset:8
.LBB6_2212:
	s_or_b32 exec_lo, exec_lo, s7
	s_waitcnt vmcnt(0)
	global_load_b64 v[6:7], v[4:5], off offset:16
	s_waitcnt vmcnt(0)
	v_cmp_eq_u64_e32 vcc_lo, 0, v[6:7]
	s_cbranch_vccnz .LBB6_2214
; %bb.2213:
	global_load_b32 v4, v[4:5], off offset:24
	s_waitcnt vmcnt(0)
	v_dual_mov_b32 v5, 0 :: v_dual_and_b32 v8, 0xffffff, v4
	s_waitcnt_vscnt null, 0x0
	global_store_b64 v[6:7], v[4:5], off
	v_readfirstlane_b32 m0, v8
	s_sendmsg sendmsg(MSG_INTERRUPT)
.LBB6_2214:
	s_or_b32 exec_lo, exec_lo, s6
	s_branch .LBB6_2216
.LBB6_2215:
	s_branch .LBB6_2220
.LBB6_2216:                             ; =>This Inner Loop Header: Depth=1
	v_mov_b32_e32 v4, 1
	s_and_saveexec_b32 s6, s1
	s_cbranch_execz .LBB6_2218
; %bb.2217:                             ;   in Loop: Header=BB6_2216 Depth=1
	global_load_b32 v4, v[1:2], off offset:20 glc
	s_waitcnt vmcnt(0)
	buffer_gl1_inv
	buffer_gl0_inv
	v_and_b32_e32 v4, 1, v4
.LBB6_2218:                             ;   in Loop: Header=BB6_2216 Depth=1
	s_or_b32 exec_lo, exec_lo, s6
	s_delay_alu instid0(VALU_DEP_1) | instskip(NEXT) | instid1(VALU_DEP_1)
	v_readfirstlane_b32 s6, v4
	s_cmp_eq_u32 s6, 0
	s_cbranch_scc1 .LBB6_2215
; %bb.2219:                             ;   in Loop: Header=BB6_2216 Depth=1
	s_sleep 1
	s_cbranch_execnz .LBB6_2216
.LBB6_2220:
	global_load_b64 v[4:5], v[12:13], off
	s_and_saveexec_b32 s6, s1
	s_cbranch_execz .LBB6_2224
; %bb.2221:
	v_mov_b32_e32 v10, 0
	s_clause 0x2
	global_load_b64 v[1:2], v10, s[4:5] offset:40
	global_load_b64 v[11:12], v10, s[4:5] offset:24 glc
	global_load_b64 v[8:9], v10, s[4:5]
	s_waitcnt vmcnt(2)
	v_add_co_u32 v13, vcc_lo, v1, 1
	v_add_co_ci_u32_e32 v14, vcc_lo, 0, v2, vcc_lo
	s_delay_alu instid0(VALU_DEP_2) | instskip(NEXT) | instid1(VALU_DEP_2)
	v_add_co_u32 v6, vcc_lo, v13, s2
	v_add_co_ci_u32_e32 v7, vcc_lo, s3, v14, vcc_lo
	s_delay_alu instid0(VALU_DEP_1) | instskip(SKIP_1) | instid1(VALU_DEP_1)
	v_cmp_eq_u64_e32 vcc_lo, 0, v[6:7]
	v_dual_cndmask_b32 v7, v7, v14 :: v_dual_cndmask_b32 v6, v6, v13
	v_and_b32_e32 v2, v7, v2
	s_delay_alu instid0(VALU_DEP_2) | instskip(NEXT) | instid1(VALU_DEP_2)
	v_and_b32_e32 v1, v6, v1
	v_mul_lo_u32 v2, v2, 24
	s_delay_alu instid0(VALU_DEP_2) | instskip(SKIP_1) | instid1(VALU_DEP_2)
	v_mul_hi_u32 v13, v1, 24
	v_mul_lo_u32 v1, v1, 24
	v_add_nc_u32_e32 v2, v13, v2
	s_waitcnt vmcnt(0)
	s_delay_alu instid0(VALU_DEP_2) | instskip(SKIP_1) | instid1(VALU_DEP_3)
	v_add_co_u32 v1, vcc_lo, v8, v1
	v_mov_b32_e32 v8, v11
	v_add_co_ci_u32_e32 v2, vcc_lo, v9, v2, vcc_lo
	v_mov_b32_e32 v9, v12
	global_store_b64 v[1:2], v[11:12], off
	s_waitcnt_vscnt null, 0x0
	global_atomic_cmpswap_b64 v[8:9], v10, v[6:9], s[4:5] offset:24 glc
	s_waitcnt vmcnt(0)
	v_cmp_ne_u64_e32 vcc_lo, v[8:9], v[11:12]
	s_and_b32 exec_lo, exec_lo, vcc_lo
	s_cbranch_execz .LBB6_2224
; %bb.2222:
	s_mov_b32 s1, 0
.LBB6_2223:                             ; =>This Inner Loop Header: Depth=1
	s_sleep 1
	global_store_b64 v[1:2], v[8:9], off
	s_waitcnt_vscnt null, 0x0
	global_atomic_cmpswap_b64 v[11:12], v10, v[6:9], s[4:5] offset:24 glc
	s_waitcnt vmcnt(0)
	v_cmp_eq_u64_e32 vcc_lo, v[11:12], v[8:9]
	v_dual_mov_b32 v8, v11 :: v_dual_mov_b32 v9, v12
	s_or_b32 s1, vcc_lo, s1
	s_delay_alu instid0(SALU_CYCLE_1)
	s_and_not1_b32 exec_lo, exec_lo, s1
	s_cbranch_execnz .LBB6_2223
.LBB6_2224:
	s_or_b32 exec_lo, exec_lo, s6
	s_getpc_b64 s[6:7]
	s_add_u32 s6, s6, .str.45@rel32@lo+4
	s_addc_u32 s7, s7, .str.45@rel32@hi+12
	s_delay_alu instid0(SALU_CYCLE_1)
	s_cmp_lg_u64 s[6:7], 0
	s_cbranch_scc0 .LBB6_2309
; %bb.2225:
	s_waitcnt vmcnt(0)
	v_dual_mov_b32 v7, v5 :: v_dual_and_b32 v38, 2, v4
	v_dual_mov_b32 v10, 0 :: v_dual_mov_b32 v11, 2
	v_and_b32_e32 v6, -3, v4
	v_mov_b32_e32 v12, 1
	s_mov_b64 s[8:9], 7
	s_branch .LBB6_2227
.LBB6_2226:                             ;   in Loop: Header=BB6_2227 Depth=1
	s_or_b32 exec_lo, exec_lo, s2
	s_sub_u32 s8, s8, s10
	s_subb_u32 s9, s9, s11
	s_add_u32 s6, s6, s10
	s_addc_u32 s7, s7, s11
	s_cmp_lg_u64 s[8:9], 0
	s_cbranch_scc0 .LBB6_2308
.LBB6_2227:                             ; =>This Loop Header: Depth=1
                                        ;     Child Loop BB6_2230 Depth 2
                                        ;     Child Loop BB6_2235 Depth 2
                                        ;     Child Loop BB6_2245 Depth 2
                                        ;     Child Loop BB6_2253 Depth 2
                                        ;     Child Loop BB6_2261 Depth 2
                                        ;     Child Loop BB6_2269 Depth 2
                                        ;     Child Loop BB6_2277 Depth 2
                                        ;     Child Loop BB6_2285 Depth 2
                                        ;     Child Loop BB6_2293 Depth 2
                                        ;     Child Loop BB6_2300 Depth 2
                                        ;     Child Loop BB6_2307 Depth 2
	v_cmp_lt_u64_e64 s1, s[8:9], 56
	v_cmp_gt_u64_e64 s2, s[8:9], 7
                                        ; implicit-def: $vgpr15_vgpr16
	s_delay_alu instid0(VALU_DEP_2) | instskip(SKIP_2) | instid1(VALU_DEP_1)
	s_and_b32 s1, s1, exec_lo
	s_cselect_b32 s11, s9, 0
	s_cselect_b32 s10, s8, 56
	s_and_b32 vcc_lo, exec_lo, s2
	s_mov_b32 s2, -1
                                        ; implicit-def: $sgpr1
	s_cbranch_vccnz .LBB6_2237
; %bb.2228:                             ;   in Loop: Header=BB6_2227 Depth=1
	v_mov_b32_e32 v15, 0
	v_mov_b32_e32 v16, 0
	s_cmp_eq_u64 s[8:9], 0
	s_mov_b64 s[2:3], 0
	s_cbranch_scc1 .LBB6_2231
; %bb.2229:                             ;   in Loop: Header=BB6_2227 Depth=1
	v_mov_b32_e32 v15, 0
	v_mov_b32_e32 v16, 0
	s_lshl_b64 s[12:13], s[10:11], 3
	s_mov_b64 s[14:15], s[6:7]
.LBB6_2230:                             ;   Parent Loop BB6_2227 Depth=1
                                        ; =>  This Inner Loop Header: Depth=2
	global_load_u8 v1, v10, s[14:15]
	s_waitcnt vmcnt(0)
	v_and_b32_e32 v9, 0xffff, v1
	s_delay_alu instid0(VALU_DEP_1)
	v_lshlrev_b64 v[1:2], s2, v[9:10]
	s_add_u32 s2, s2, 8
	s_addc_u32 s3, s3, 0
	s_add_u32 s14, s14, 1
	s_addc_u32 s15, s15, 0
	s_cmp_lg_u32 s12, s2
	v_or_b32_e32 v15, v1, v15
	v_or_b32_e32 v16, v2, v16
	s_cbranch_scc1 .LBB6_2230
.LBB6_2231:                             ;   in Loop: Header=BB6_2227 Depth=1
	s_mov_b32 s1, 0
	s_mov_b64 s[2:3], s[6:7]
	s_cbranch_execz .LBB6_2238
.LBB6_2232:                             ;   in Loop: Header=BB6_2227 Depth=1
	s_cmp_gt_u32 s1, 7
	s_cbranch_scc1 .LBB6_2239
.LBB6_2233:                             ;   in Loop: Header=BB6_2227 Depth=1
	v_mov_b32_e32 v17, 0
	v_mov_b32_e32 v18, 0
	s_cmp_eq_u32 s1, 0
	s_cbranch_scc1 .LBB6_2236
; %bb.2234:                             ;   in Loop: Header=BB6_2227 Depth=1
	s_mov_b64 s[12:13], 0
	s_mov_b64 s[14:15], 0
.LBB6_2235:                             ;   Parent Loop BB6_2227 Depth=1
                                        ; =>  This Inner Loop Header: Depth=2
	s_delay_alu instid0(SALU_CYCLE_1)
	s_add_u32 s20, s2, s14
	s_addc_u32 s21, s3, s15
	s_add_u32 s14, s14, 1
	global_load_u8 v1, v10, s[20:21]
	s_addc_u32 s15, s15, 0
	s_waitcnt vmcnt(0)
	v_and_b32_e32 v9, 0xffff, v1
	s_delay_alu instid0(VALU_DEP_1) | instskip(SKIP_3) | instid1(VALU_DEP_1)
	v_lshlrev_b64 v[1:2], s12, v[9:10]
	s_add_u32 s12, s12, 8
	s_addc_u32 s13, s13, 0
	s_cmp_lg_u32 s1, s14
	v_or_b32_e32 v17, v1, v17
	s_delay_alu instid0(VALU_DEP_2)
	v_or_b32_e32 v18, v2, v18
	s_cbranch_scc1 .LBB6_2235
.LBB6_2236:                             ;   in Loop: Header=BB6_2227 Depth=1
	s_mov_b32 s12, 0
	s_mov_b32 s19, 0
	s_branch .LBB6_2240
.LBB6_2237:                             ;   in Loop: Header=BB6_2227 Depth=1
	s_and_not1_b32 vcc_lo, exec_lo, s2
	s_mov_b64 s[2:3], s[6:7]
	s_cbranch_vccnz .LBB6_2232
.LBB6_2238:                             ;   in Loop: Header=BB6_2227 Depth=1
	global_load_b64 v[15:16], v10, s[6:7]
	s_add_i32 s1, s10, -8
	s_add_u32 s2, s6, 8
	s_addc_u32 s3, s7, 0
	s_cmp_gt_u32 s1, 7
	s_cbranch_scc0 .LBB6_2233
.LBB6_2239:                             ;   in Loop: Header=BB6_2227 Depth=1
	s_mov_b32 s12, -1
                                        ; implicit-def: $vgpr17_vgpr18
                                        ; implicit-def: $sgpr19
.LBB6_2240:                             ;   in Loop: Header=BB6_2227 Depth=1
	s_delay_alu instid0(SALU_CYCLE_1)
	s_and_not1_b32 vcc_lo, exec_lo, s12
	s_cbranch_vccnz .LBB6_2242
; %bb.2241:                             ;   in Loop: Header=BB6_2227 Depth=1
	global_load_b64 v[17:18], v10, s[2:3]
	s_add_i32 s19, s1, -8
	s_add_u32 s2, s2, 8
	s_addc_u32 s3, s3, 0
.LBB6_2242:                             ;   in Loop: Header=BB6_2227 Depth=1
	s_cmp_gt_u32 s19, 7
	s_cbranch_scc1 .LBB6_2247
; %bb.2243:                             ;   in Loop: Header=BB6_2227 Depth=1
	v_mov_b32_e32 v19, 0
	v_mov_b32_e32 v20, 0
	s_cmp_eq_u32 s19, 0
	s_cbranch_scc1 .LBB6_2246
; %bb.2244:                             ;   in Loop: Header=BB6_2227 Depth=1
	s_mov_b64 s[12:13], 0
	s_mov_b64 s[14:15], 0
.LBB6_2245:                             ;   Parent Loop BB6_2227 Depth=1
                                        ; =>  This Inner Loop Header: Depth=2
	s_delay_alu instid0(SALU_CYCLE_1)
	s_add_u32 s20, s2, s14
	s_addc_u32 s21, s3, s15
	s_add_u32 s14, s14, 1
	global_load_u8 v1, v10, s[20:21]
	s_addc_u32 s15, s15, 0
	s_waitcnt vmcnt(0)
	v_and_b32_e32 v9, 0xffff, v1
	s_delay_alu instid0(VALU_DEP_1) | instskip(SKIP_3) | instid1(VALU_DEP_1)
	v_lshlrev_b64 v[1:2], s12, v[9:10]
	s_add_u32 s12, s12, 8
	s_addc_u32 s13, s13, 0
	s_cmp_lg_u32 s19, s14
	v_or_b32_e32 v19, v1, v19
	s_delay_alu instid0(VALU_DEP_2)
	v_or_b32_e32 v20, v2, v20
	s_cbranch_scc1 .LBB6_2245
.LBB6_2246:                             ;   in Loop: Header=BB6_2227 Depth=1
	s_mov_b32 s12, 0
	s_mov_b32 s1, 0
	s_branch .LBB6_2248
.LBB6_2247:                             ;   in Loop: Header=BB6_2227 Depth=1
	s_mov_b32 s12, -1
                                        ; implicit-def: $sgpr1
.LBB6_2248:                             ;   in Loop: Header=BB6_2227 Depth=1
	s_delay_alu instid0(SALU_CYCLE_1)
	s_and_not1_b32 vcc_lo, exec_lo, s12
	s_cbranch_vccnz .LBB6_2250
; %bb.2249:                             ;   in Loop: Header=BB6_2227 Depth=1
	global_load_b64 v[19:20], v10, s[2:3]
	s_add_i32 s1, s19, -8
	s_add_u32 s2, s2, 8
	s_addc_u32 s3, s3, 0
.LBB6_2250:                             ;   in Loop: Header=BB6_2227 Depth=1
	s_cmp_gt_u32 s1, 7
	s_cbranch_scc1 .LBB6_2255
; %bb.2251:                             ;   in Loop: Header=BB6_2227 Depth=1
	v_mov_b32_e32 v21, 0
	v_mov_b32_e32 v22, 0
	s_cmp_eq_u32 s1, 0
	s_cbranch_scc1 .LBB6_2254
; %bb.2252:                             ;   in Loop: Header=BB6_2227 Depth=1
	s_mov_b64 s[12:13], 0
	s_mov_b64 s[14:15], 0
.LBB6_2253:                             ;   Parent Loop BB6_2227 Depth=1
                                        ; =>  This Inner Loop Header: Depth=2
	s_delay_alu instid0(SALU_CYCLE_1)
	s_add_u32 s20, s2, s14
	s_addc_u32 s21, s3, s15
	s_add_u32 s14, s14, 1
	global_load_u8 v1, v10, s[20:21]
	s_addc_u32 s15, s15, 0
	s_waitcnt vmcnt(0)
	v_and_b32_e32 v9, 0xffff, v1
	s_delay_alu instid0(VALU_DEP_1) | instskip(SKIP_3) | instid1(VALU_DEP_1)
	v_lshlrev_b64 v[1:2], s12, v[9:10]
	s_add_u32 s12, s12, 8
	s_addc_u32 s13, s13, 0
	s_cmp_lg_u32 s1, s14
	v_or_b32_e32 v21, v1, v21
	s_delay_alu instid0(VALU_DEP_2)
	v_or_b32_e32 v22, v2, v22
	s_cbranch_scc1 .LBB6_2253
.LBB6_2254:                             ;   in Loop: Header=BB6_2227 Depth=1
	s_mov_b32 s12, 0
	s_mov_b32 s19, 0
	s_branch .LBB6_2256
.LBB6_2255:                             ;   in Loop: Header=BB6_2227 Depth=1
	s_mov_b32 s12, -1
                                        ; implicit-def: $vgpr21_vgpr22
                                        ; implicit-def: $sgpr19
.LBB6_2256:                             ;   in Loop: Header=BB6_2227 Depth=1
	s_delay_alu instid0(SALU_CYCLE_1)
	s_and_not1_b32 vcc_lo, exec_lo, s12
	s_cbranch_vccnz .LBB6_2258
; %bb.2257:                             ;   in Loop: Header=BB6_2227 Depth=1
	global_load_b64 v[21:22], v10, s[2:3]
	s_add_i32 s19, s1, -8
	s_add_u32 s2, s2, 8
	s_addc_u32 s3, s3, 0
.LBB6_2258:                             ;   in Loop: Header=BB6_2227 Depth=1
	s_cmp_gt_u32 s19, 7
	s_cbranch_scc1 .LBB6_2263
; %bb.2259:                             ;   in Loop: Header=BB6_2227 Depth=1
	v_mov_b32_e32 v23, 0
	v_mov_b32_e32 v24, 0
	s_cmp_eq_u32 s19, 0
	s_cbranch_scc1 .LBB6_2262
; %bb.2260:                             ;   in Loop: Header=BB6_2227 Depth=1
	s_mov_b64 s[12:13], 0
	s_mov_b64 s[14:15], 0
.LBB6_2261:                             ;   Parent Loop BB6_2227 Depth=1
                                        ; =>  This Inner Loop Header: Depth=2
	s_delay_alu instid0(SALU_CYCLE_1)
	s_add_u32 s20, s2, s14
	s_addc_u32 s21, s3, s15
	s_add_u32 s14, s14, 1
	global_load_u8 v1, v10, s[20:21]
	s_addc_u32 s15, s15, 0
	s_waitcnt vmcnt(0)
	v_and_b32_e32 v9, 0xffff, v1
	s_delay_alu instid0(VALU_DEP_1) | instskip(SKIP_3) | instid1(VALU_DEP_1)
	v_lshlrev_b64 v[1:2], s12, v[9:10]
	s_add_u32 s12, s12, 8
	s_addc_u32 s13, s13, 0
	s_cmp_lg_u32 s19, s14
	v_or_b32_e32 v23, v1, v23
	s_delay_alu instid0(VALU_DEP_2)
	v_or_b32_e32 v24, v2, v24
	s_cbranch_scc1 .LBB6_2261
.LBB6_2262:                             ;   in Loop: Header=BB6_2227 Depth=1
	s_mov_b32 s12, 0
	s_mov_b32 s1, 0
	s_branch .LBB6_2264
.LBB6_2263:                             ;   in Loop: Header=BB6_2227 Depth=1
	s_mov_b32 s12, -1
                                        ; implicit-def: $sgpr1
.LBB6_2264:                             ;   in Loop: Header=BB6_2227 Depth=1
	s_delay_alu instid0(SALU_CYCLE_1)
	s_and_not1_b32 vcc_lo, exec_lo, s12
	s_cbranch_vccnz .LBB6_2266
; %bb.2265:                             ;   in Loop: Header=BB6_2227 Depth=1
	global_load_b64 v[23:24], v10, s[2:3]
	s_add_i32 s1, s19, -8
	s_add_u32 s2, s2, 8
	s_addc_u32 s3, s3, 0
.LBB6_2266:                             ;   in Loop: Header=BB6_2227 Depth=1
	s_cmp_gt_u32 s1, 7
	s_cbranch_scc1 .LBB6_2271
; %bb.2267:                             ;   in Loop: Header=BB6_2227 Depth=1
	v_mov_b32_e32 v25, 0
	v_mov_b32_e32 v26, 0
	s_cmp_eq_u32 s1, 0
	s_cbranch_scc1 .LBB6_2270
; %bb.2268:                             ;   in Loop: Header=BB6_2227 Depth=1
	s_mov_b64 s[12:13], 0
	s_mov_b64 s[14:15], 0
.LBB6_2269:                             ;   Parent Loop BB6_2227 Depth=1
                                        ; =>  This Inner Loop Header: Depth=2
	s_delay_alu instid0(SALU_CYCLE_1)
	s_add_u32 s20, s2, s14
	s_addc_u32 s21, s3, s15
	s_add_u32 s14, s14, 1
	global_load_u8 v1, v10, s[20:21]
	s_addc_u32 s15, s15, 0
	s_waitcnt vmcnt(0)
	v_and_b32_e32 v9, 0xffff, v1
	s_delay_alu instid0(VALU_DEP_1) | instskip(SKIP_3) | instid1(VALU_DEP_1)
	v_lshlrev_b64 v[1:2], s12, v[9:10]
	s_add_u32 s12, s12, 8
	s_addc_u32 s13, s13, 0
	s_cmp_lg_u32 s1, s14
	v_or_b32_e32 v25, v1, v25
	s_delay_alu instid0(VALU_DEP_2)
	v_or_b32_e32 v26, v2, v26
	s_cbranch_scc1 .LBB6_2269
.LBB6_2270:                             ;   in Loop: Header=BB6_2227 Depth=1
	s_mov_b32 s12, 0
	s_mov_b32 s19, 0
	s_branch .LBB6_2272
.LBB6_2271:                             ;   in Loop: Header=BB6_2227 Depth=1
	s_mov_b32 s12, -1
                                        ; implicit-def: $vgpr25_vgpr26
                                        ; implicit-def: $sgpr19
.LBB6_2272:                             ;   in Loop: Header=BB6_2227 Depth=1
	s_delay_alu instid0(SALU_CYCLE_1)
	s_and_not1_b32 vcc_lo, exec_lo, s12
	s_cbranch_vccnz .LBB6_2274
; %bb.2273:                             ;   in Loop: Header=BB6_2227 Depth=1
	global_load_b64 v[25:26], v10, s[2:3]
	s_add_i32 s19, s1, -8
	s_add_u32 s2, s2, 8
	s_addc_u32 s3, s3, 0
.LBB6_2274:                             ;   in Loop: Header=BB6_2227 Depth=1
	s_cmp_gt_u32 s19, 7
	s_cbranch_scc1 .LBB6_2279
; %bb.2275:                             ;   in Loop: Header=BB6_2227 Depth=1
	v_mov_b32_e32 v27, 0
	v_mov_b32_e32 v28, 0
	s_cmp_eq_u32 s19, 0
	s_cbranch_scc1 .LBB6_2278
; %bb.2276:                             ;   in Loop: Header=BB6_2227 Depth=1
	s_mov_b64 s[12:13], 0
	s_mov_b64 s[14:15], s[2:3]
.LBB6_2277:                             ;   Parent Loop BB6_2227 Depth=1
                                        ; =>  This Inner Loop Header: Depth=2
	global_load_u8 v1, v10, s[14:15]
	s_add_i32 s19, s19, -1
	s_waitcnt vmcnt(0)
	v_and_b32_e32 v9, 0xffff, v1
	s_delay_alu instid0(VALU_DEP_1)
	v_lshlrev_b64 v[1:2], s12, v[9:10]
	s_add_u32 s12, s12, 8
	s_addc_u32 s13, s13, 0
	s_add_u32 s14, s14, 1
	s_addc_u32 s15, s15, 0
	s_cmp_lg_u32 s19, 0
	v_or_b32_e32 v27, v1, v27
	v_or_b32_e32 v28, v2, v28
	s_cbranch_scc1 .LBB6_2277
.LBB6_2278:                             ;   in Loop: Header=BB6_2227 Depth=1
	s_mov_b32 s1, 0
	s_branch .LBB6_2280
.LBB6_2279:                             ;   in Loop: Header=BB6_2227 Depth=1
	s_mov_b32 s1, -1
.LBB6_2280:                             ;   in Loop: Header=BB6_2227 Depth=1
	s_delay_alu instid0(SALU_CYCLE_1)
	s_and_not1_b32 vcc_lo, exec_lo, s1
	s_cbranch_vccnz .LBB6_2282
; %bb.2281:                             ;   in Loop: Header=BB6_2227 Depth=1
	global_load_b64 v[27:28], v10, s[2:3]
.LBB6_2282:                             ;   in Loop: Header=BB6_2227 Depth=1
	v_readfirstlane_b32 s1, v36
	v_mov_b32_e32 v1, 0
	v_mov_b32_e32 v2, 0
	s_delay_alu instid0(VALU_DEP_3) | instskip(NEXT) | instid1(VALU_DEP_1)
	v_cmp_eq_u32_e64 s1, s1, v36
	s_and_saveexec_b32 s2, s1
	s_cbranch_execz .LBB6_2288
; %bb.2283:                             ;   in Loop: Header=BB6_2227 Depth=1
	global_load_b64 v[31:32], v10, s[4:5] offset:24 glc
	s_waitcnt vmcnt(0)
	buffer_gl1_inv
	buffer_gl0_inv
	s_clause 0x1
	global_load_b64 v[1:2], v10, s[4:5] offset:40
	global_load_b64 v[8:9], v10, s[4:5]
	s_mov_b32 s3, exec_lo
	s_waitcnt vmcnt(1)
	v_and_b32_e32 v2, v2, v32
	v_and_b32_e32 v1, v1, v31
	s_delay_alu instid0(VALU_DEP_2) | instskip(NEXT) | instid1(VALU_DEP_2)
	v_mul_lo_u32 v2, v2, 24
	v_mul_hi_u32 v13, v1, 24
	v_mul_lo_u32 v1, v1, 24
	s_delay_alu instid0(VALU_DEP_2) | instskip(SKIP_1) | instid1(VALU_DEP_2)
	v_add_nc_u32_e32 v2, v13, v2
	s_waitcnt vmcnt(0)
	v_add_co_u32 v1, vcc_lo, v8, v1
	s_delay_alu instid0(VALU_DEP_2)
	v_add_co_ci_u32_e32 v2, vcc_lo, v9, v2, vcc_lo
	global_load_b64 v[29:30], v[1:2], off glc
	s_waitcnt vmcnt(0)
	global_atomic_cmpswap_b64 v[1:2], v10, v[29:32], s[4:5] offset:24 glc
	s_waitcnt vmcnt(0)
	buffer_gl1_inv
	buffer_gl0_inv
	v_cmpx_ne_u64_e64 v[1:2], v[31:32]
	s_cbranch_execz .LBB6_2287
; %bb.2284:                             ;   in Loop: Header=BB6_2227 Depth=1
	s_mov_b32 s12, 0
.LBB6_2285:                             ;   Parent Loop BB6_2227 Depth=1
                                        ; =>  This Inner Loop Header: Depth=2
	s_sleep 1
	s_clause 0x1
	global_load_b64 v[8:9], v10, s[4:5] offset:40
	global_load_b64 v[13:14], v10, s[4:5]
	v_dual_mov_b32 v32, v2 :: v_dual_mov_b32 v31, v1
	s_waitcnt vmcnt(1)
	s_delay_alu instid0(VALU_DEP_1) | instskip(SKIP_1) | instid1(VALU_DEP_1)
	v_and_b32_e32 v8, v8, v31
	s_waitcnt vmcnt(0)
	v_mad_u64_u32 v[1:2], null, v8, 24, v[13:14]
	v_and_b32_e32 v13, v9, v32
	s_delay_alu instid0(VALU_DEP_1) | instskip(NEXT) | instid1(VALU_DEP_1)
	v_mad_u64_u32 v[8:9], null, v13, 24, v[2:3]
	v_mov_b32_e32 v2, v8
	global_load_b64 v[29:30], v[1:2], off glc
	s_waitcnt vmcnt(0)
	global_atomic_cmpswap_b64 v[1:2], v10, v[29:32], s[4:5] offset:24 glc
	s_waitcnt vmcnt(0)
	buffer_gl1_inv
	buffer_gl0_inv
	v_cmp_eq_u64_e32 vcc_lo, v[1:2], v[31:32]
	s_or_b32 s12, vcc_lo, s12
	s_delay_alu instid0(SALU_CYCLE_1)
	s_and_not1_b32 exec_lo, exec_lo, s12
	s_cbranch_execnz .LBB6_2285
; %bb.2286:                             ;   in Loop: Header=BB6_2227 Depth=1
	s_or_b32 exec_lo, exec_lo, s12
.LBB6_2287:                             ;   in Loop: Header=BB6_2227 Depth=1
	s_delay_alu instid0(SALU_CYCLE_1)
	s_or_b32 exec_lo, exec_lo, s3
.LBB6_2288:                             ;   in Loop: Header=BB6_2227 Depth=1
	s_delay_alu instid0(SALU_CYCLE_1)
	s_or_b32 exec_lo, exec_lo, s2
	s_clause 0x1
	global_load_b64 v[8:9], v10, s[4:5] offset:40
	global_load_b128 v[29:32], v10, s[4:5]
	v_readfirstlane_b32 s12, v1
	v_readfirstlane_b32 s13, v2
	s_mov_b32 s14, exec_lo
	s_waitcnt vmcnt(1)
	v_readfirstlane_b32 s2, v8
	v_readfirstlane_b32 s3, v9
	s_delay_alu instid0(VALU_DEP_1) | instskip(NEXT) | instid1(SALU_CYCLE_1)
	s_and_b64 s[2:3], s[12:13], s[2:3]
	s_mul_i32 s15, s3, 24
	s_mul_hi_u32 s19, s2, 24
	s_mul_i32 s20, s2, 24
	s_add_i32 s19, s19, s15
	s_waitcnt vmcnt(0)
	v_add_co_u32 v1, vcc_lo, v29, s20
	v_add_co_ci_u32_e32 v2, vcc_lo, s19, v30, vcc_lo
	s_and_saveexec_b32 s15, s1
	s_cbranch_execz .LBB6_2290
; %bb.2289:                             ;   in Loop: Header=BB6_2227 Depth=1
	v_mov_b32_e32 v9, s14
	global_store_b128 v[1:2], v[9:12], off offset:8
.LBB6_2290:                             ;   in Loop: Header=BB6_2227 Depth=1
	s_or_b32 exec_lo, exec_lo, s15
	s_lshl_b64 s[2:3], s[2:3], 12
	v_cmp_gt_u64_e64 vcc_lo, s[8:9], 56
	v_or_b32_e32 v9, v6, v38
	v_add_co_u32 v31, s2, v31, s2
	s_delay_alu instid0(VALU_DEP_1)
	v_add_co_ci_u32_e64 v32, s2, s3, v32, s2
	s_lshl_b32 s2, s10, 2
	v_or_b32_e32 v8, 0, v7
	v_cndmask_b32_e32 v6, v9, v6, vcc_lo
	s_add_i32 s2, s2, 28
	v_readfirstlane_b32 s3, v32
	s_and_b32 s14, s2, 0x1e0
	v_cndmask_b32_e32 v14, v8, v7, vcc_lo
	v_readfirstlane_b32 s2, v31
	v_and_or_b32 v13, 0xffffff1f, v6, s14
	s_clause 0x3
	global_store_b128 v35, v[13:16], s[2:3]
	global_store_b128 v35, v[17:20], s[2:3] offset:16
	global_store_b128 v35, v[21:24], s[2:3] offset:32
	;; [unrolled: 1-line block ×3, first 2 shown]
	s_and_saveexec_b32 s2, s1
	s_cbranch_execz .LBB6_2298
; %bb.2291:                             ;   in Loop: Header=BB6_2227 Depth=1
	s_clause 0x1
	global_load_b64 v[17:18], v10, s[4:5] offset:32 glc
	global_load_b64 v[6:7], v10, s[4:5] offset:40
	v_dual_mov_b32 v15, s12 :: v_dual_mov_b32 v16, s13
	s_waitcnt vmcnt(0)
	v_readfirstlane_b32 s14, v6
	v_readfirstlane_b32 s15, v7
	s_delay_alu instid0(VALU_DEP_1) | instskip(NEXT) | instid1(SALU_CYCLE_1)
	s_and_b64 s[14:15], s[14:15], s[12:13]
	s_mul_i32 s3, s15, 24
	s_mul_hi_u32 s15, s14, 24
	s_mul_i32 s14, s14, 24
	s_add_i32 s15, s15, s3
	v_add_co_u32 v13, vcc_lo, v29, s14
	v_add_co_ci_u32_e32 v14, vcc_lo, s15, v30, vcc_lo
	s_mov_b32 s3, exec_lo
	global_store_b64 v[13:14], v[17:18], off
	s_waitcnt_vscnt null, 0x0
	global_atomic_cmpswap_b64 v[8:9], v10, v[15:18], s[4:5] offset:32 glc
	s_waitcnt vmcnt(0)
	v_cmpx_ne_u64_e64 v[8:9], v[17:18]
	s_cbranch_execz .LBB6_2294
; %bb.2292:                             ;   in Loop: Header=BB6_2227 Depth=1
	s_mov_b32 s14, 0
.LBB6_2293:                             ;   Parent Loop BB6_2227 Depth=1
                                        ; =>  This Inner Loop Header: Depth=2
	v_dual_mov_b32 v6, s12 :: v_dual_mov_b32 v7, s13
	s_sleep 1
	global_store_b64 v[13:14], v[8:9], off
	s_waitcnt_vscnt null, 0x0
	global_atomic_cmpswap_b64 v[6:7], v10, v[6:9], s[4:5] offset:32 glc
	s_waitcnt vmcnt(0)
	v_cmp_eq_u64_e32 vcc_lo, v[6:7], v[8:9]
	v_dual_mov_b32 v9, v7 :: v_dual_mov_b32 v8, v6
	s_or_b32 s14, vcc_lo, s14
	s_delay_alu instid0(SALU_CYCLE_1)
	s_and_not1_b32 exec_lo, exec_lo, s14
	s_cbranch_execnz .LBB6_2293
.LBB6_2294:                             ;   in Loop: Header=BB6_2227 Depth=1
	s_or_b32 exec_lo, exec_lo, s3
	global_load_b64 v[6:7], v10, s[4:5] offset:16
	s_mov_b32 s14, exec_lo
	s_mov_b32 s3, exec_lo
	v_mbcnt_lo_u32_b32 v8, s14, 0
	s_delay_alu instid0(VALU_DEP_1)
	v_cmpx_eq_u32_e32 0, v8
	s_cbranch_execz .LBB6_2296
; %bb.2295:                             ;   in Loop: Header=BB6_2227 Depth=1
	s_bcnt1_i32_b32 s14, s14
	s_delay_alu instid0(SALU_CYCLE_1)
	v_mov_b32_e32 v9, s14
	s_waitcnt vmcnt(0)
	global_atomic_add_u64 v[6:7], v[9:10], off offset:8
.LBB6_2296:                             ;   in Loop: Header=BB6_2227 Depth=1
	s_or_b32 exec_lo, exec_lo, s3
	s_waitcnt vmcnt(0)
	global_load_b64 v[13:14], v[6:7], off offset:16
	s_waitcnt vmcnt(0)
	v_cmp_eq_u64_e32 vcc_lo, 0, v[13:14]
	s_cbranch_vccnz .LBB6_2298
; %bb.2297:                             ;   in Loop: Header=BB6_2227 Depth=1
	global_load_b32 v9, v[6:7], off offset:24
	s_waitcnt vmcnt(0)
	v_and_b32_e32 v6, 0xffffff, v9
	s_waitcnt_vscnt null, 0x0
	global_store_b64 v[13:14], v[9:10], off
	v_readfirstlane_b32 m0, v6
	s_sendmsg sendmsg(MSG_INTERRUPT)
.LBB6_2298:                             ;   in Loop: Header=BB6_2227 Depth=1
	s_or_b32 exec_lo, exec_lo, s2
	v_add_co_u32 v6, vcc_lo, v31, v35
	v_add_co_ci_u32_e32 v7, vcc_lo, 0, v32, vcc_lo
	s_branch .LBB6_2300
.LBB6_2299:                             ;   in Loop: Header=BB6_2227 Depth=1
	s_branch .LBB6_2304
.LBB6_2300:                             ;   Parent Loop BB6_2227 Depth=1
                                        ; =>  This Inner Loop Header: Depth=2
	v_mov_b32_e32 v8, 1
	s_and_saveexec_b32 s2, s1
	s_cbranch_execz .LBB6_2302
; %bb.2301:                             ;   in Loop: Header=BB6_2300 Depth=2
	global_load_b32 v8, v[1:2], off offset:20 glc
	s_waitcnt vmcnt(0)
	buffer_gl1_inv
	buffer_gl0_inv
	v_and_b32_e32 v8, 1, v8
.LBB6_2302:                             ;   in Loop: Header=BB6_2300 Depth=2
	s_or_b32 exec_lo, exec_lo, s2
	s_delay_alu instid0(VALU_DEP_1) | instskip(NEXT) | instid1(VALU_DEP_1)
	v_readfirstlane_b32 s2, v8
	s_cmp_eq_u32 s2, 0
	s_cbranch_scc1 .LBB6_2299
; %bb.2303:                             ;   in Loop: Header=BB6_2300 Depth=2
	s_sleep 1
	s_cbranch_execnz .LBB6_2300
.LBB6_2304:                             ;   in Loop: Header=BB6_2227 Depth=1
	global_load_b128 v[6:9], v[6:7], off
	s_and_saveexec_b32 s2, s1
	s_cbranch_execz .LBB6_2226
; %bb.2305:                             ;   in Loop: Header=BB6_2227 Depth=1
	s_clause 0x2
	global_load_b64 v[1:2], v10, s[4:5] offset:40
	global_load_b64 v[8:9], v10, s[4:5] offset:24 glc
	global_load_b64 v[15:16], v10, s[4:5]
	s_waitcnt vmcnt(2)
	v_add_co_u32 v17, vcc_lo, v1, 1
	v_add_co_ci_u32_e32 v18, vcc_lo, 0, v2, vcc_lo
	s_delay_alu instid0(VALU_DEP_2) | instskip(NEXT) | instid1(VALU_DEP_2)
	v_add_co_u32 v13, vcc_lo, v17, s12
	v_add_co_ci_u32_e32 v14, vcc_lo, s13, v18, vcc_lo
	s_delay_alu instid0(VALU_DEP_1) | instskip(SKIP_1) | instid1(VALU_DEP_1)
	v_cmp_eq_u64_e32 vcc_lo, 0, v[13:14]
	v_dual_cndmask_b32 v14, v14, v18 :: v_dual_cndmask_b32 v13, v13, v17
	v_and_b32_e32 v2, v14, v2
	s_delay_alu instid0(VALU_DEP_2) | instskip(NEXT) | instid1(VALU_DEP_1)
	v_and_b32_e32 v1, v13, v1
	v_mul_hi_u32 v17, v1, 24
	v_mul_lo_u32 v1, v1, 24
	s_waitcnt vmcnt(0)
	s_delay_alu instid0(VALU_DEP_1) | instskip(SKIP_2) | instid1(VALU_DEP_1)
	v_add_co_u32 v1, vcc_lo, v15, v1
	v_mov_b32_e32 v15, v8
	v_mul_lo_u32 v2, v2, 24
	v_add_nc_u32_e32 v2, v17, v2
	s_delay_alu instid0(VALU_DEP_1)
	v_add_co_ci_u32_e32 v2, vcc_lo, v16, v2, vcc_lo
	v_mov_b32_e32 v16, v9
	global_store_b64 v[1:2], v[8:9], off
	s_waitcnt_vscnt null, 0x0
	global_atomic_cmpswap_b64 v[15:16], v10, v[13:16], s[4:5] offset:24 glc
	s_waitcnt vmcnt(0)
	v_cmp_ne_u64_e32 vcc_lo, v[15:16], v[8:9]
	s_and_b32 exec_lo, exec_lo, vcc_lo
	s_cbranch_execz .LBB6_2226
; %bb.2306:                             ;   in Loop: Header=BB6_2227 Depth=1
	s_mov_b32 s1, 0
.LBB6_2307:                             ;   Parent Loop BB6_2227 Depth=1
                                        ; =>  This Inner Loop Header: Depth=2
	s_sleep 1
	global_store_b64 v[1:2], v[15:16], off
	s_waitcnt_vscnt null, 0x0
	global_atomic_cmpswap_b64 v[8:9], v10, v[13:16], s[4:5] offset:24 glc
	s_waitcnt vmcnt(0)
	v_cmp_eq_u64_e32 vcc_lo, v[8:9], v[15:16]
	v_dual_mov_b32 v16, v9 :: v_dual_mov_b32 v15, v8
	s_or_b32 s1, vcc_lo, s1
	s_delay_alu instid0(SALU_CYCLE_1)
	s_and_not1_b32 exec_lo, exec_lo, s1
	s_cbranch_execnz .LBB6_2307
	s_branch .LBB6_2226
.LBB6_2308:
	s_mov_b32 s1, 0
	s_branch .LBB6_2310
.LBB6_2309:
	s_mov_b32 s1, -1
                                        ; implicit-def: $vgpr6_vgpr7
.LBB6_2310:
	s_delay_alu instid0(SALU_CYCLE_1)
	s_and_b32 vcc_lo, exec_lo, s1
	s_cbranch_vccz .LBB6_2338
; %bb.2311:
	v_readfirstlane_b32 s1, v36
	v_mov_b32_e32 v1, 0
	v_mov_b32_e32 v2, 0
	s_delay_alu instid0(VALU_DEP_3) | instskip(NEXT) | instid1(VALU_DEP_1)
	v_cmp_eq_u32_e64 s1, s1, v36
	s_and_saveexec_b32 s2, s1
	s_cbranch_execz .LBB6_2317
; %bb.2312:
	s_waitcnt vmcnt(0)
	v_mov_b32_e32 v6, 0
	s_mov_b32 s3, exec_lo
	global_load_b64 v[9:10], v6, s[4:5] offset:24 glc
	s_waitcnt vmcnt(0)
	buffer_gl1_inv
	buffer_gl0_inv
	s_clause 0x1
	global_load_b64 v[1:2], v6, s[4:5] offset:40
	global_load_b64 v[7:8], v6, s[4:5]
	s_waitcnt vmcnt(1)
	v_and_b32_e32 v1, v1, v9
	v_and_b32_e32 v2, v2, v10
	s_delay_alu instid0(VALU_DEP_2) | instskip(NEXT) | instid1(VALU_DEP_2)
	v_mul_hi_u32 v11, v1, 24
	v_mul_lo_u32 v2, v2, 24
	v_mul_lo_u32 v1, v1, 24
	s_delay_alu instid0(VALU_DEP_2) | instskip(SKIP_1) | instid1(VALU_DEP_2)
	v_add_nc_u32_e32 v2, v11, v2
	s_waitcnt vmcnt(0)
	v_add_co_u32 v1, vcc_lo, v7, v1
	s_delay_alu instid0(VALU_DEP_2)
	v_add_co_ci_u32_e32 v2, vcc_lo, v8, v2, vcc_lo
	global_load_b64 v[7:8], v[1:2], off glc
	s_waitcnt vmcnt(0)
	global_atomic_cmpswap_b64 v[1:2], v6, v[7:10], s[4:5] offset:24 glc
	s_waitcnt vmcnt(0)
	buffer_gl1_inv
	buffer_gl0_inv
	v_cmpx_ne_u64_e64 v[1:2], v[9:10]
	s_cbranch_execz .LBB6_2316
; %bb.2313:
	s_mov_b32 s6, 0
.LBB6_2314:                             ; =>This Inner Loop Header: Depth=1
	s_sleep 1
	s_clause 0x1
	global_load_b64 v[7:8], v6, s[4:5] offset:40
	global_load_b64 v[11:12], v6, s[4:5]
	v_dual_mov_b32 v10, v2 :: v_dual_mov_b32 v9, v1
	s_waitcnt vmcnt(1)
	s_delay_alu instid0(VALU_DEP_1) | instskip(SKIP_1) | instid1(VALU_DEP_1)
	v_and_b32_e32 v7, v7, v9
	s_waitcnt vmcnt(0)
	v_mad_u64_u32 v[1:2], null, v7, 24, v[11:12]
	v_and_b32_e32 v11, v8, v10
	s_delay_alu instid0(VALU_DEP_1) | instskip(NEXT) | instid1(VALU_DEP_1)
	v_mad_u64_u32 v[7:8], null, v11, 24, v[2:3]
	v_mov_b32_e32 v2, v7
	global_load_b64 v[7:8], v[1:2], off glc
	s_waitcnt vmcnt(0)
	global_atomic_cmpswap_b64 v[1:2], v6, v[7:10], s[4:5] offset:24 glc
	s_waitcnt vmcnt(0)
	buffer_gl1_inv
	buffer_gl0_inv
	v_cmp_eq_u64_e32 vcc_lo, v[1:2], v[9:10]
	s_or_b32 s6, vcc_lo, s6
	s_delay_alu instid0(SALU_CYCLE_1)
	s_and_not1_b32 exec_lo, exec_lo, s6
	s_cbranch_execnz .LBB6_2314
; %bb.2315:
	s_or_b32 exec_lo, exec_lo, s6
.LBB6_2316:
	s_delay_alu instid0(SALU_CYCLE_1)
	s_or_b32 exec_lo, exec_lo, s3
.LBB6_2317:
	s_delay_alu instid0(SALU_CYCLE_1)
	s_or_b32 exec_lo, exec_lo, s2
	s_waitcnt vmcnt(0)
	v_mov_b32_e32 v6, 0
	v_readfirstlane_b32 s2, v1
	v_readfirstlane_b32 s3, v2
	s_mov_b32 s8, exec_lo
	s_clause 0x1
	global_load_b64 v[12:13], v6, s[4:5] offset:40
	global_load_b128 v[8:11], v6, s[4:5]
	s_waitcnt vmcnt(1)
	v_readfirstlane_b32 s6, v12
	v_readfirstlane_b32 s7, v13
	s_delay_alu instid0(VALU_DEP_1) | instskip(NEXT) | instid1(SALU_CYCLE_1)
	s_and_b64 s[6:7], s[2:3], s[6:7]
	s_mul_i32 s9, s7, 24
	s_mul_hi_u32 s10, s6, 24
	s_mul_i32 s11, s6, 24
	s_add_i32 s10, s10, s9
	s_waitcnt vmcnt(0)
	v_add_co_u32 v1, vcc_lo, v8, s11
	v_add_co_ci_u32_e32 v2, vcc_lo, s10, v9, vcc_lo
	s_and_saveexec_b32 s9, s1
	s_cbranch_execz .LBB6_2319
; %bb.2318:
	v_dual_mov_b32 v12, s8 :: v_dual_mov_b32 v13, v6
	v_dual_mov_b32 v14, 2 :: v_dual_mov_b32 v15, 1
	global_store_b128 v[1:2], v[12:15], off offset:8
.LBB6_2319:
	s_or_b32 exec_lo, exec_lo, s9
	s_lshl_b64 s[6:7], s[6:7], 12
	s_mov_b32 s8, 0
	v_add_co_u32 v10, vcc_lo, v10, s6
	v_add_co_ci_u32_e32 v11, vcc_lo, s7, v11, vcc_lo
	s_mov_b32 s11, s8
	s_delay_alu instid0(VALU_DEP_2)
	v_readfirstlane_b32 s6, v10
	v_add_co_u32 v10, vcc_lo, v10, v35
	s_mov_b32 s9, s8
	s_mov_b32 s10, s8
	v_and_or_b32 v4, 0xffffff1f, v4, 32
	v_mov_b32_e32 v7, v6
	v_readfirstlane_b32 s7, v11
	v_dual_mov_b32 v15, s11 :: v_dual_mov_b32 v12, s8
	v_add_co_ci_u32_e32 v11, vcc_lo, 0, v11, vcc_lo
	v_dual_mov_b32 v14, s10 :: v_dual_mov_b32 v13, s9
	s_clause 0x3
	global_store_b128 v35, v[4:7], s[6:7]
	global_store_b128 v35, v[12:15], s[6:7] offset:16
	global_store_b128 v35, v[12:15], s[6:7] offset:32
	;; [unrolled: 1-line block ×3, first 2 shown]
	s_and_saveexec_b32 s6, s1
	s_cbranch_execz .LBB6_2327
; %bb.2320:
	v_dual_mov_b32 v12, 0 :: v_dual_mov_b32 v13, s2
	v_mov_b32_e32 v14, s3
	s_clause 0x1
	global_load_b64 v[15:16], v12, s[4:5] offset:32 glc
	global_load_b64 v[4:5], v12, s[4:5] offset:40
	s_waitcnt vmcnt(0)
	v_readfirstlane_b32 s8, v4
	v_readfirstlane_b32 s9, v5
	s_delay_alu instid0(VALU_DEP_1) | instskip(NEXT) | instid1(SALU_CYCLE_1)
	s_and_b64 s[8:9], s[8:9], s[2:3]
	s_mul_i32 s7, s9, 24
	s_mul_hi_u32 s9, s8, 24
	s_mul_i32 s8, s8, 24
	s_add_i32 s9, s9, s7
	v_add_co_u32 v8, vcc_lo, v8, s8
	v_add_co_ci_u32_e32 v9, vcc_lo, s9, v9, vcc_lo
	s_mov_b32 s7, exec_lo
	global_store_b64 v[8:9], v[15:16], off
	s_waitcnt_vscnt null, 0x0
	global_atomic_cmpswap_b64 v[6:7], v12, v[13:16], s[4:5] offset:32 glc
	s_waitcnt vmcnt(0)
	v_cmpx_ne_u64_e64 v[6:7], v[15:16]
	s_cbranch_execz .LBB6_2323
; %bb.2321:
	s_mov_b32 s8, 0
.LBB6_2322:                             ; =>This Inner Loop Header: Depth=1
	v_dual_mov_b32 v4, s2 :: v_dual_mov_b32 v5, s3
	s_sleep 1
	global_store_b64 v[8:9], v[6:7], off
	s_waitcnt_vscnt null, 0x0
	global_atomic_cmpswap_b64 v[4:5], v12, v[4:7], s[4:5] offset:32 glc
	s_waitcnt vmcnt(0)
	v_cmp_eq_u64_e32 vcc_lo, v[4:5], v[6:7]
	v_dual_mov_b32 v7, v5 :: v_dual_mov_b32 v6, v4
	s_or_b32 s8, vcc_lo, s8
	s_delay_alu instid0(SALU_CYCLE_1)
	s_and_not1_b32 exec_lo, exec_lo, s8
	s_cbranch_execnz .LBB6_2322
.LBB6_2323:
	s_or_b32 exec_lo, exec_lo, s7
	v_mov_b32_e32 v7, 0
	s_mov_b32 s8, exec_lo
	s_mov_b32 s7, exec_lo
	v_mbcnt_lo_u32_b32 v6, s8, 0
	global_load_b64 v[4:5], v7, s[4:5] offset:16
	v_cmpx_eq_u32_e32 0, v6
	s_cbranch_execz .LBB6_2325
; %bb.2324:
	s_bcnt1_i32_b32 s8, s8
	s_delay_alu instid0(SALU_CYCLE_1)
	v_mov_b32_e32 v6, s8
	s_waitcnt vmcnt(0)
	global_atomic_add_u64 v[4:5], v[6:7], off offset:8
.LBB6_2325:
	s_or_b32 exec_lo, exec_lo, s7
	s_waitcnt vmcnt(0)
	global_load_b64 v[6:7], v[4:5], off offset:16
	s_waitcnt vmcnt(0)
	v_cmp_eq_u64_e32 vcc_lo, 0, v[6:7]
	s_cbranch_vccnz .LBB6_2327
; %bb.2326:
	global_load_b32 v4, v[4:5], off offset:24
	s_waitcnt vmcnt(0)
	v_dual_mov_b32 v5, 0 :: v_dual_and_b32 v8, 0xffffff, v4
	s_waitcnt_vscnt null, 0x0
	global_store_b64 v[6:7], v[4:5], off
	v_readfirstlane_b32 m0, v8
	s_sendmsg sendmsg(MSG_INTERRUPT)
.LBB6_2327:
	s_or_b32 exec_lo, exec_lo, s6
	s_branch .LBB6_2329
.LBB6_2328:
	s_branch .LBB6_2333
.LBB6_2329:                             ; =>This Inner Loop Header: Depth=1
	v_mov_b32_e32 v4, 1
	s_and_saveexec_b32 s6, s1
	s_cbranch_execz .LBB6_2331
; %bb.2330:                             ;   in Loop: Header=BB6_2329 Depth=1
	global_load_b32 v4, v[1:2], off offset:20 glc
	s_waitcnt vmcnt(0)
	buffer_gl1_inv
	buffer_gl0_inv
	v_and_b32_e32 v4, 1, v4
.LBB6_2331:                             ;   in Loop: Header=BB6_2329 Depth=1
	s_or_b32 exec_lo, exec_lo, s6
	s_delay_alu instid0(VALU_DEP_1) | instskip(NEXT) | instid1(VALU_DEP_1)
	v_readfirstlane_b32 s6, v4
	s_cmp_eq_u32 s6, 0
	s_cbranch_scc1 .LBB6_2328
; %bb.2332:                             ;   in Loop: Header=BB6_2329 Depth=1
	s_sleep 1
	s_cbranch_execnz .LBB6_2329
.LBB6_2333:
	global_load_b64 v[6:7], v[10:11], off
	s_and_saveexec_b32 s6, s1
	s_cbranch_execz .LBB6_2337
; %bb.2334:
	v_mov_b32_e32 v4, 0
	s_clause 0x2
	global_load_b64 v[1:2], v4, s[4:5] offset:40
	global_load_b64 v[12:13], v4, s[4:5] offset:24 glc
	global_load_b64 v[10:11], v4, s[4:5]
	s_waitcnt vmcnt(2)
	v_add_co_u32 v5, vcc_lo, v1, 1
	v_add_co_ci_u32_e32 v14, vcc_lo, 0, v2, vcc_lo
	s_delay_alu instid0(VALU_DEP_2) | instskip(NEXT) | instid1(VALU_DEP_2)
	v_add_co_u32 v8, vcc_lo, v5, s2
	v_add_co_ci_u32_e32 v9, vcc_lo, s3, v14, vcc_lo
	s_delay_alu instid0(VALU_DEP_1) | instskip(SKIP_1) | instid1(VALU_DEP_1)
	v_cmp_eq_u64_e32 vcc_lo, 0, v[8:9]
	v_dual_cndmask_b32 v9, v9, v14 :: v_dual_cndmask_b32 v8, v8, v5
	v_and_b32_e32 v2, v9, v2
	s_delay_alu instid0(VALU_DEP_2) | instskip(NEXT) | instid1(VALU_DEP_2)
	v_and_b32_e32 v1, v8, v1
	v_mul_lo_u32 v2, v2, 24
	s_delay_alu instid0(VALU_DEP_2) | instskip(SKIP_1) | instid1(VALU_DEP_2)
	v_mul_hi_u32 v5, v1, 24
	v_mul_lo_u32 v1, v1, 24
	v_add_nc_u32_e32 v2, v5, v2
	s_waitcnt vmcnt(0)
	s_delay_alu instid0(VALU_DEP_2) | instskip(SKIP_1) | instid1(VALU_DEP_3)
	v_add_co_u32 v1, vcc_lo, v10, v1
	v_mov_b32_e32 v10, v12
	v_add_co_ci_u32_e32 v2, vcc_lo, v11, v2, vcc_lo
	v_mov_b32_e32 v11, v13
	global_store_b64 v[1:2], v[12:13], off
	s_waitcnt_vscnt null, 0x0
	global_atomic_cmpswap_b64 v[10:11], v4, v[8:11], s[4:5] offset:24 glc
	s_waitcnt vmcnt(0)
	v_cmp_ne_u64_e32 vcc_lo, v[10:11], v[12:13]
	s_and_b32 exec_lo, exec_lo, vcc_lo
	s_cbranch_execz .LBB6_2337
; %bb.2335:
	s_mov_b32 s1, 0
.LBB6_2336:                             ; =>This Inner Loop Header: Depth=1
	s_sleep 1
	global_store_b64 v[1:2], v[10:11], off
	s_waitcnt_vscnt null, 0x0
	global_atomic_cmpswap_b64 v[12:13], v4, v[8:11], s[4:5] offset:24 glc
	s_waitcnt vmcnt(0)
	v_cmp_eq_u64_e32 vcc_lo, v[12:13], v[10:11]
	v_dual_mov_b32 v10, v12 :: v_dual_mov_b32 v11, v13
	s_or_b32 s1, vcc_lo, s1
	s_delay_alu instid0(SALU_CYCLE_1)
	s_and_not1_b32 exec_lo, exec_lo, s1
	s_cbranch_execnz .LBB6_2336
.LBB6_2337:
	s_or_b32 exec_lo, exec_lo, s6
.LBB6_2338:
	v_readfirstlane_b32 s1, v36
	v_mov_b32_e32 v1, 0
	v_mov_b32_e32 v2, 0
	s_delay_alu instid0(VALU_DEP_3) | instskip(NEXT) | instid1(VALU_DEP_1)
	v_cmp_eq_u32_e64 s1, s1, v36
	s_and_saveexec_b32 s2, s1
	s_cbranch_execz .LBB6_2344
; %bb.2339:
	s_waitcnt vmcnt(0)
	v_mov_b32_e32 v4, 0
	s_mov_b32 s3, exec_lo
	global_load_b64 v[10:11], v4, s[4:5] offset:24 glc
	s_waitcnt vmcnt(0)
	buffer_gl1_inv
	buffer_gl0_inv
	s_clause 0x1
	global_load_b64 v[1:2], v4, s[4:5] offset:40
	global_load_b64 v[8:9], v4, s[4:5]
	s_waitcnt vmcnt(1)
	v_and_b32_e32 v1, v1, v10
	v_and_b32_e32 v2, v2, v11
	s_delay_alu instid0(VALU_DEP_2) | instskip(NEXT) | instid1(VALU_DEP_2)
	v_mul_hi_u32 v5, v1, 24
	v_mul_lo_u32 v2, v2, 24
	v_mul_lo_u32 v1, v1, 24
	s_delay_alu instid0(VALU_DEP_2) | instskip(SKIP_1) | instid1(VALU_DEP_2)
	v_add_nc_u32_e32 v2, v5, v2
	s_waitcnt vmcnt(0)
	v_add_co_u32 v1, vcc_lo, v8, v1
	s_delay_alu instid0(VALU_DEP_2)
	v_add_co_ci_u32_e32 v2, vcc_lo, v9, v2, vcc_lo
	global_load_b64 v[8:9], v[1:2], off glc
	s_waitcnt vmcnt(0)
	global_atomic_cmpswap_b64 v[1:2], v4, v[8:11], s[4:5] offset:24 glc
	s_waitcnt vmcnt(0)
	buffer_gl1_inv
	buffer_gl0_inv
	v_cmpx_ne_u64_e64 v[1:2], v[10:11]
	s_cbranch_execz .LBB6_2343
; %bb.2340:
	s_mov_b32 s6, 0
.LBB6_2341:                             ; =>This Inner Loop Header: Depth=1
	s_sleep 1
	s_clause 0x1
	global_load_b64 v[8:9], v4, s[4:5] offset:40
	global_load_b64 v[12:13], v4, s[4:5]
	v_dual_mov_b32 v11, v2 :: v_dual_mov_b32 v10, v1
	s_waitcnt vmcnt(1)
	s_delay_alu instid0(VALU_DEP_1) | instskip(SKIP_1) | instid1(VALU_DEP_1)
	v_and_b32_e32 v5, v8, v10
	s_waitcnt vmcnt(0)
	v_mad_u64_u32 v[1:2], null, v5, 24, v[12:13]
	v_and_b32_e32 v5, v9, v11
	s_delay_alu instid0(VALU_DEP_1) | instskip(NEXT) | instid1(VALU_DEP_1)
	v_mad_u64_u32 v[8:9], null, v5, 24, v[2:3]
	v_mov_b32_e32 v2, v8
	global_load_b64 v[8:9], v[1:2], off glc
	s_waitcnt vmcnt(0)
	global_atomic_cmpswap_b64 v[1:2], v4, v[8:11], s[4:5] offset:24 glc
	s_waitcnt vmcnt(0)
	buffer_gl1_inv
	buffer_gl0_inv
	v_cmp_eq_u64_e32 vcc_lo, v[1:2], v[10:11]
	s_or_b32 s6, vcc_lo, s6
	s_delay_alu instid0(SALU_CYCLE_1)
	s_and_not1_b32 exec_lo, exec_lo, s6
	s_cbranch_execnz .LBB6_2341
; %bb.2342:
	s_or_b32 exec_lo, exec_lo, s6
.LBB6_2343:
	s_delay_alu instid0(SALU_CYCLE_1)
	s_or_b32 exec_lo, exec_lo, s3
.LBB6_2344:
	s_delay_alu instid0(SALU_CYCLE_1)
	s_or_b32 exec_lo, exec_lo, s2
	s_waitcnt vmcnt(0)
	v_mov_b32_e32 v9, 0
	v_readfirstlane_b32 s2, v1
	v_readfirstlane_b32 s3, v2
	s_mov_b32 s8, exec_lo
	s_clause 0x1
	global_load_b64 v[4:5], v9, s[4:5] offset:40
	global_load_b128 v[10:13], v9, s[4:5]
	s_waitcnt vmcnt(1)
	v_readfirstlane_b32 s6, v4
	v_readfirstlane_b32 s7, v5
	s_delay_alu instid0(VALU_DEP_1) | instskip(NEXT) | instid1(SALU_CYCLE_1)
	s_and_b64 s[6:7], s[2:3], s[6:7]
	s_mul_i32 s9, s7, 24
	s_mul_hi_u32 s10, s6, 24
	s_mul_i32 s11, s6, 24
	s_add_i32 s10, s10, s9
	s_waitcnt vmcnt(0)
	v_add_co_u32 v1, vcc_lo, v10, s11
	v_add_co_ci_u32_e32 v2, vcc_lo, s10, v11, vcc_lo
	s_and_saveexec_b32 s9, s1
	s_cbranch_execz .LBB6_2346
; %bb.2345:
	v_dual_mov_b32 v8, s8 :: v_dual_mov_b32 v17, 1
	v_dual_mov_b32 v16, 2 :: v_dual_mov_b32 v15, v9
	s_delay_alu instid0(VALU_DEP_2)
	v_mov_b32_e32 v14, v8
	global_store_b128 v[1:2], v[14:17], off offset:8
.LBB6_2346:
	s_or_b32 exec_lo, exec_lo, s9
	s_lshl_b64 s[6:7], s[6:7], 12
	s_mov_b32 s8, 0
	v_add_co_u32 v4, vcc_lo, v12, s6
	v_add_co_ci_u32_e32 v5, vcc_lo, s7, v13, vcc_lo
	s_mov_b32 s11, s8
	s_delay_alu instid0(VALU_DEP_2)
	v_add_co_u32 v12, vcc_lo, v4, v35
	s_mov_b32 s9, s8
	s_mov_b32 s10, s8
	v_and_or_b32 v6, 0xffffff1f, v6, 32
	v_dual_mov_b32 v8, v37 :: v_dual_mov_b32 v17, s11
	v_readfirstlane_b32 s6, v4
	v_readfirstlane_b32 s7, v5
	v_add_co_ci_u32_e32 v13, vcc_lo, 0, v5, vcc_lo
	v_dual_mov_b32 v16, s10 :: v_dual_mov_b32 v15, s9
	v_mov_b32_e32 v14, s8
	s_clause 0x3
	global_store_b128 v35, v[6:9], s[6:7]
	global_store_b128 v35, v[14:17], s[6:7] offset:16
	global_store_b128 v35, v[14:17], s[6:7] offset:32
	global_store_b128 v35, v[14:17], s[6:7] offset:48
	s_and_saveexec_b32 s6, s1
	s_cbranch_execz .LBB6_2354
; %bb.2347:
	v_dual_mov_b32 v14, 0 :: v_dual_mov_b32 v15, s2
	v_mov_b32_e32 v16, s3
	s_clause 0x1
	global_load_b64 v[17:18], v14, s[4:5] offset:32 glc
	global_load_b64 v[4:5], v14, s[4:5] offset:40
	s_waitcnt vmcnt(0)
	v_readfirstlane_b32 s8, v4
	v_readfirstlane_b32 s9, v5
	s_delay_alu instid0(VALU_DEP_1) | instskip(NEXT) | instid1(SALU_CYCLE_1)
	s_and_b64 s[8:9], s[8:9], s[2:3]
	s_mul_i32 s7, s9, 24
	s_mul_hi_u32 s9, s8, 24
	s_mul_i32 s8, s8, 24
	s_add_i32 s9, s9, s7
	v_add_co_u32 v8, vcc_lo, v10, s8
	v_add_co_ci_u32_e32 v9, vcc_lo, s9, v11, vcc_lo
	s_mov_b32 s7, exec_lo
	global_store_b64 v[8:9], v[17:18], off
	s_waitcnt_vscnt null, 0x0
	global_atomic_cmpswap_b64 v[6:7], v14, v[15:18], s[4:5] offset:32 glc
	s_waitcnt vmcnt(0)
	v_cmpx_ne_u64_e64 v[6:7], v[17:18]
	s_cbranch_execz .LBB6_2350
; %bb.2348:
	s_mov_b32 s8, 0
.LBB6_2349:                             ; =>This Inner Loop Header: Depth=1
	v_dual_mov_b32 v4, s2 :: v_dual_mov_b32 v5, s3
	s_sleep 1
	global_store_b64 v[8:9], v[6:7], off
	s_waitcnt_vscnt null, 0x0
	global_atomic_cmpswap_b64 v[4:5], v14, v[4:7], s[4:5] offset:32 glc
	s_waitcnt vmcnt(0)
	v_cmp_eq_u64_e32 vcc_lo, v[4:5], v[6:7]
	v_dual_mov_b32 v7, v5 :: v_dual_mov_b32 v6, v4
	s_or_b32 s8, vcc_lo, s8
	s_delay_alu instid0(SALU_CYCLE_1)
	s_and_not1_b32 exec_lo, exec_lo, s8
	s_cbranch_execnz .LBB6_2349
.LBB6_2350:
	s_or_b32 exec_lo, exec_lo, s7
	v_mov_b32_e32 v7, 0
	s_mov_b32 s8, exec_lo
	s_mov_b32 s7, exec_lo
	v_mbcnt_lo_u32_b32 v6, s8, 0
	global_load_b64 v[4:5], v7, s[4:5] offset:16
	v_cmpx_eq_u32_e32 0, v6
	s_cbranch_execz .LBB6_2352
; %bb.2351:
	s_bcnt1_i32_b32 s8, s8
	s_delay_alu instid0(SALU_CYCLE_1)
	v_mov_b32_e32 v6, s8
	s_waitcnt vmcnt(0)
	global_atomic_add_u64 v[4:5], v[6:7], off offset:8
.LBB6_2352:
	s_or_b32 exec_lo, exec_lo, s7
	s_waitcnt vmcnt(0)
	global_load_b64 v[6:7], v[4:5], off offset:16
	s_waitcnt vmcnt(0)
	v_cmp_eq_u64_e32 vcc_lo, 0, v[6:7]
	s_cbranch_vccnz .LBB6_2354
; %bb.2353:
	global_load_b32 v4, v[4:5], off offset:24
	s_waitcnt vmcnt(0)
	v_dual_mov_b32 v5, 0 :: v_dual_and_b32 v8, 0xffffff, v4
	s_waitcnt_vscnt null, 0x0
	global_store_b64 v[6:7], v[4:5], off
	v_readfirstlane_b32 m0, v8
	s_sendmsg sendmsg(MSG_INTERRUPT)
.LBB6_2354:
	s_or_b32 exec_lo, exec_lo, s6
	s_branch .LBB6_2356
.LBB6_2355:
	s_branch .LBB6_2360
.LBB6_2356:                             ; =>This Inner Loop Header: Depth=1
	v_mov_b32_e32 v4, 1
	s_and_saveexec_b32 s6, s1
	s_cbranch_execz .LBB6_2358
; %bb.2357:                             ;   in Loop: Header=BB6_2356 Depth=1
	global_load_b32 v4, v[1:2], off offset:20 glc
	s_waitcnt vmcnt(0)
	buffer_gl1_inv
	buffer_gl0_inv
	v_and_b32_e32 v4, 1, v4
.LBB6_2358:                             ;   in Loop: Header=BB6_2356 Depth=1
	s_or_b32 exec_lo, exec_lo, s6
	s_delay_alu instid0(VALU_DEP_1) | instskip(NEXT) | instid1(VALU_DEP_1)
	v_readfirstlane_b32 s6, v4
	s_cmp_eq_u32 s6, 0
	s_cbranch_scc1 .LBB6_2355
; %bb.2359:                             ;   in Loop: Header=BB6_2356 Depth=1
	s_sleep 1
	s_cbranch_execnz .LBB6_2356
.LBB6_2360:
	global_load_b64 v[1:2], v[12:13], off
	s_and_saveexec_b32 s6, s1
	s_cbranch_execz .LBB6_2364
; %bb.2361:
	v_mov_b32_e32 v10, 0
	s_clause 0x2
	global_load_b64 v[6:7], v10, s[4:5] offset:40
	global_load_b64 v[11:12], v10, s[4:5] offset:24 glc
	global_load_b64 v[8:9], v10, s[4:5]
	s_waitcnt vmcnt(2)
	v_add_co_u32 v13, vcc_lo, v6, 1
	v_add_co_ci_u32_e32 v14, vcc_lo, 0, v7, vcc_lo
	s_delay_alu instid0(VALU_DEP_2) | instskip(NEXT) | instid1(VALU_DEP_2)
	v_add_co_u32 v4, vcc_lo, v13, s2
	v_add_co_ci_u32_e32 v5, vcc_lo, s3, v14, vcc_lo
	s_delay_alu instid0(VALU_DEP_1) | instskip(SKIP_1) | instid1(VALU_DEP_1)
	v_cmp_eq_u64_e32 vcc_lo, 0, v[4:5]
	v_dual_cndmask_b32 v5, v5, v14 :: v_dual_cndmask_b32 v4, v4, v13
	v_and_b32_e32 v7, v5, v7
	s_delay_alu instid0(VALU_DEP_2) | instskip(NEXT) | instid1(VALU_DEP_2)
	v_and_b32_e32 v6, v4, v6
	v_mul_lo_u32 v7, v7, 24
	s_delay_alu instid0(VALU_DEP_2) | instskip(SKIP_1) | instid1(VALU_DEP_2)
	v_mul_hi_u32 v13, v6, 24
	v_mul_lo_u32 v6, v6, 24
	v_add_nc_u32_e32 v7, v13, v7
	s_waitcnt vmcnt(0)
	s_delay_alu instid0(VALU_DEP_2) | instskip(SKIP_1) | instid1(VALU_DEP_3)
	v_add_co_u32 v8, vcc_lo, v8, v6
	v_mov_b32_e32 v6, v11
	v_add_co_ci_u32_e32 v9, vcc_lo, v9, v7, vcc_lo
	v_mov_b32_e32 v7, v12
	global_store_b64 v[8:9], v[11:12], off
	s_waitcnt_vscnt null, 0x0
	global_atomic_cmpswap_b64 v[6:7], v10, v[4:7], s[4:5] offset:24 glc
	s_waitcnt vmcnt(0)
	v_cmp_ne_u64_e32 vcc_lo, v[6:7], v[11:12]
	s_and_b32 exec_lo, exec_lo, vcc_lo
	s_cbranch_execz .LBB6_2364
; %bb.2362:
	s_mov_b32 s1, 0
.LBB6_2363:                             ; =>This Inner Loop Header: Depth=1
	s_sleep 1
	global_store_b64 v[8:9], v[6:7], off
	s_waitcnt_vscnt null, 0x0
	global_atomic_cmpswap_b64 v[11:12], v10, v[4:7], s[4:5] offset:24 glc
	s_waitcnt vmcnt(0)
	v_cmp_eq_u64_e32 vcc_lo, v[11:12], v[6:7]
	v_dual_mov_b32 v6, v11 :: v_dual_mov_b32 v7, v12
	s_or_b32 s1, vcc_lo, s1
	s_delay_alu instid0(SALU_CYCLE_1)
	s_and_not1_b32 exec_lo, exec_lo, s1
	s_cbranch_execnz .LBB6_2363
.LBB6_2364:
	s_or_b32 exec_lo, exec_lo, s6
	v_readfirstlane_b32 s1, v36
	v_mov_b32_e32 v9, 0
	v_mov_b32_e32 v10, 0
	s_delay_alu instid0(VALU_DEP_3) | instskip(NEXT) | instid1(VALU_DEP_1)
	v_cmp_eq_u32_e64 s1, s1, v36
	s_and_saveexec_b32 s2, s1
	s_cbranch_execz .LBB6_2370
; %bb.2365:
	v_mov_b32_e32 v4, 0
	s_mov_b32 s3, exec_lo
	global_load_b64 v[7:8], v4, s[4:5] offset:24 glc
	s_waitcnt vmcnt(0)
	buffer_gl1_inv
	buffer_gl0_inv
	s_clause 0x1
	global_load_b64 v[5:6], v4, s[4:5] offset:40
	global_load_b64 v[9:10], v4, s[4:5]
	s_waitcnt vmcnt(1)
	v_and_b32_e32 v5, v5, v7
	v_and_b32_e32 v6, v6, v8
	s_delay_alu instid0(VALU_DEP_2) | instskip(NEXT) | instid1(VALU_DEP_2)
	v_mul_hi_u32 v11, v5, 24
	v_mul_lo_u32 v6, v6, 24
	v_mul_lo_u32 v5, v5, 24
	s_delay_alu instid0(VALU_DEP_2) | instskip(SKIP_1) | instid1(VALU_DEP_2)
	v_add_nc_u32_e32 v6, v11, v6
	s_waitcnt vmcnt(0)
	v_add_co_u32 v5, vcc_lo, v9, v5
	s_delay_alu instid0(VALU_DEP_2)
	v_add_co_ci_u32_e32 v6, vcc_lo, v10, v6, vcc_lo
	global_load_b64 v[5:6], v[5:6], off glc
	s_waitcnt vmcnt(0)
	global_atomic_cmpswap_b64 v[9:10], v4, v[5:8], s[4:5] offset:24 glc
	s_waitcnt vmcnt(0)
	buffer_gl1_inv
	buffer_gl0_inv
	v_cmpx_ne_u64_e64 v[9:10], v[7:8]
	s_cbranch_execz .LBB6_2369
; %bb.2366:
	s_mov_b32 s6, 0
.LBB6_2367:                             ; =>This Inner Loop Header: Depth=1
	s_sleep 1
	s_clause 0x1
	global_load_b64 v[5:6], v4, s[4:5] offset:40
	global_load_b64 v[11:12], v4, s[4:5]
	v_dual_mov_b32 v7, v9 :: v_dual_mov_b32 v8, v10
	s_waitcnt vmcnt(1)
	s_delay_alu instid0(VALU_DEP_1) | instskip(NEXT) | instid1(VALU_DEP_2)
	v_and_b32_e32 v5, v5, v7
	v_and_b32_e32 v6, v6, v8
	s_waitcnt vmcnt(0)
	s_delay_alu instid0(VALU_DEP_2) | instskip(NEXT) | instid1(VALU_DEP_1)
	v_mad_u64_u32 v[9:10], null, v5, 24, v[11:12]
	v_mov_b32_e32 v5, v10
	s_delay_alu instid0(VALU_DEP_1)
	v_mad_u64_u32 v[10:11], null, v6, 24, v[5:6]
	global_load_b64 v[5:6], v[9:10], off glc
	s_waitcnt vmcnt(0)
	global_atomic_cmpswap_b64 v[9:10], v4, v[5:8], s[4:5] offset:24 glc
	s_waitcnt vmcnt(0)
	buffer_gl1_inv
	buffer_gl0_inv
	v_cmp_eq_u64_e32 vcc_lo, v[9:10], v[7:8]
	s_or_b32 s6, vcc_lo, s6
	s_delay_alu instid0(SALU_CYCLE_1)
	s_and_not1_b32 exec_lo, exec_lo, s6
	s_cbranch_execnz .LBB6_2367
; %bb.2368:
	s_or_b32 exec_lo, exec_lo, s6
.LBB6_2369:
	s_delay_alu instid0(SALU_CYCLE_1)
	s_or_b32 exec_lo, exec_lo, s3
.LBB6_2370:
	s_delay_alu instid0(SALU_CYCLE_1)
	s_or_b32 exec_lo, exec_lo, s2
	v_mov_b32_e32 v4, 0
	v_readfirstlane_b32 s2, v9
	v_readfirstlane_b32 s3, v10
	s_mov_b32 s8, exec_lo
	s_clause 0x1
	global_load_b64 v[11:12], v4, s[4:5] offset:40
	global_load_b128 v[5:8], v4, s[4:5]
	s_waitcnt vmcnt(1)
	v_readfirstlane_b32 s6, v11
	v_readfirstlane_b32 s7, v12
	s_delay_alu instid0(VALU_DEP_1) | instskip(NEXT) | instid1(SALU_CYCLE_1)
	s_and_b64 s[6:7], s[2:3], s[6:7]
	s_mul_i32 s9, s7, 24
	s_mul_hi_u32 s10, s6, 24
	s_mul_i32 s11, s6, 24
	s_add_i32 s10, s10, s9
	s_waitcnt vmcnt(0)
	v_add_co_u32 v9, vcc_lo, v5, s11
	v_add_co_ci_u32_e32 v10, vcc_lo, s10, v6, vcc_lo
	s_and_saveexec_b32 s9, s1
	s_cbranch_execz .LBB6_2372
; %bb.2371:
	v_dual_mov_b32 v11, s8 :: v_dual_mov_b32 v12, v4
	v_dual_mov_b32 v13, 2 :: v_dual_mov_b32 v14, 1
	global_store_b128 v[9:10], v[11:14], off offset:8
.LBB6_2372:
	s_or_b32 exec_lo, exec_lo, s9
	s_lshl_b64 s[6:7], s[6:7], 12
	s_mov_b32 s8, 0
	v_add_co_u32 v7, vcc_lo, v7, s6
	v_add_co_ci_u32_e32 v8, vcc_lo, s7, v8, vcc_lo
	s_mov_b32 s11, s8
	s_mov_b32 s9, s8
	;; [unrolled: 1-line block ×3, first 2 shown]
	v_and_or_b32 v1, 0xffffff1d, v1, 34
	v_readfirstlane_b32 s6, v7
	v_readfirstlane_b32 s7, v8
	v_dual_mov_b32 v14, s11 :: v_dual_mov_b32 v13, s10
	v_dual_mov_b32 v12, s9 :: v_dual_mov_b32 v11, s8
	s_clause 0x3
	global_store_b128 v35, v[1:4], s[6:7]
	global_store_b128 v35, v[11:14], s[6:7] offset:16
	global_store_b128 v35, v[11:14], s[6:7] offset:32
	;; [unrolled: 1-line block ×3, first 2 shown]
	s_and_saveexec_b32 s6, s1
	s_cbranch_execz .LBB6_2380
; %bb.2373:
	v_dual_mov_b32 v7, 0 :: v_dual_mov_b32 v12, s3
	v_mov_b32_e32 v11, s2
	s_clause 0x1
	global_load_b64 v[13:14], v7, s[4:5] offset:32 glc
	global_load_b64 v[1:2], v7, s[4:5] offset:40
	s_waitcnt vmcnt(0)
	v_readfirstlane_b32 s8, v1
	v_readfirstlane_b32 s9, v2
	s_delay_alu instid0(VALU_DEP_1) | instskip(NEXT) | instid1(SALU_CYCLE_1)
	s_and_b64 s[8:9], s[8:9], s[2:3]
	s_mul_i32 s7, s9, 24
	s_mul_hi_u32 s9, s8, 24
	s_mul_i32 s8, s8, 24
	s_add_i32 s9, s9, s7
	v_add_co_u32 v5, vcc_lo, v5, s8
	v_add_co_ci_u32_e32 v6, vcc_lo, s9, v6, vcc_lo
	s_mov_b32 s7, exec_lo
	global_store_b64 v[5:6], v[13:14], off
	s_waitcnt_vscnt null, 0x0
	global_atomic_cmpswap_b64 v[3:4], v7, v[11:14], s[4:5] offset:32 glc
	s_waitcnt vmcnt(0)
	v_cmpx_ne_u64_e64 v[3:4], v[13:14]
	s_cbranch_execz .LBB6_2376
; %bb.2374:
	s_mov_b32 s8, 0
.LBB6_2375:                             ; =>This Inner Loop Header: Depth=1
	v_dual_mov_b32 v1, s2 :: v_dual_mov_b32 v2, s3
	s_sleep 1
	global_store_b64 v[5:6], v[3:4], off
	s_waitcnt_vscnt null, 0x0
	global_atomic_cmpswap_b64 v[1:2], v7, v[1:4], s[4:5] offset:32 glc
	s_waitcnt vmcnt(0)
	v_cmp_eq_u64_e32 vcc_lo, v[1:2], v[3:4]
	v_dual_mov_b32 v4, v2 :: v_dual_mov_b32 v3, v1
	s_or_b32 s8, vcc_lo, s8
	s_delay_alu instid0(SALU_CYCLE_1)
	s_and_not1_b32 exec_lo, exec_lo, s8
	s_cbranch_execnz .LBB6_2375
.LBB6_2376:
	s_or_b32 exec_lo, exec_lo, s7
	v_mov_b32_e32 v4, 0
	s_mov_b32 s8, exec_lo
	s_mov_b32 s7, exec_lo
	v_mbcnt_lo_u32_b32 v3, s8, 0
	global_load_b64 v[1:2], v4, s[4:5] offset:16
	v_cmpx_eq_u32_e32 0, v3
	s_cbranch_execz .LBB6_2378
; %bb.2377:
	s_bcnt1_i32_b32 s8, s8
	s_delay_alu instid0(SALU_CYCLE_1)
	v_mov_b32_e32 v3, s8
	s_waitcnt vmcnt(0)
	global_atomic_add_u64 v[1:2], v[3:4], off offset:8
.LBB6_2378:
	s_or_b32 exec_lo, exec_lo, s7
	s_waitcnt vmcnt(0)
	global_load_b64 v[3:4], v[1:2], off offset:16
	s_waitcnt vmcnt(0)
	v_cmp_eq_u64_e32 vcc_lo, 0, v[3:4]
	s_cbranch_vccnz .LBB6_2380
; %bb.2379:
	global_load_b32 v1, v[1:2], off offset:24
	s_waitcnt vmcnt(0)
	v_dual_mov_b32 v2, 0 :: v_dual_and_b32 v5, 0xffffff, v1
	s_waitcnt_vscnt null, 0x0
	global_store_b64 v[3:4], v[1:2], off
	v_readfirstlane_b32 m0, v5
	s_sendmsg sendmsg(MSG_INTERRUPT)
.LBB6_2380:
	s_or_b32 exec_lo, exec_lo, s6
	s_branch .LBB6_2382
.LBB6_2381:
	s_branch .LBB6_2386
.LBB6_2382:                             ; =>This Inner Loop Header: Depth=1
	v_mov_b32_e32 v1, 1
	s_and_saveexec_b32 s6, s1
	s_cbranch_execz .LBB6_2384
; %bb.2383:                             ;   in Loop: Header=BB6_2382 Depth=1
	global_load_b32 v1, v[9:10], off offset:20 glc
	s_waitcnt vmcnt(0)
	buffer_gl1_inv
	buffer_gl0_inv
	v_and_b32_e32 v1, 1, v1
.LBB6_2384:                             ;   in Loop: Header=BB6_2382 Depth=1
	s_or_b32 exec_lo, exec_lo, s6
	s_delay_alu instid0(VALU_DEP_1) | instskip(NEXT) | instid1(VALU_DEP_1)
	v_readfirstlane_b32 s6, v1
	s_cmp_eq_u32 s6, 0
	s_cbranch_scc1 .LBB6_2381
; %bb.2385:                             ;   in Loop: Header=BB6_2382 Depth=1
	s_sleep 1
	s_cbranch_execnz .LBB6_2382
.LBB6_2386:
	s_and_b32 exec_lo, exec_lo, s1
	s_cbranch_execz .LBB6_2390
; %bb.2387:
	v_mov_b32_e32 v7, 0
	s_clause 0x2
	global_load_b64 v[3:4], v7, s[4:5] offset:40
	global_load_b64 v[8:9], v7, s[4:5] offset:24 glc
	global_load_b64 v[5:6], v7, s[4:5]
	s_waitcnt vmcnt(2)
	v_add_co_u32 v10, vcc_lo, v3, 1
	v_add_co_ci_u32_e32 v11, vcc_lo, 0, v4, vcc_lo
	s_delay_alu instid0(VALU_DEP_2) | instskip(NEXT) | instid1(VALU_DEP_2)
	v_add_co_u32 v1, vcc_lo, v10, s2
	v_add_co_ci_u32_e32 v2, vcc_lo, s3, v11, vcc_lo
	s_delay_alu instid0(VALU_DEP_1) | instskip(SKIP_1) | instid1(VALU_DEP_1)
	v_cmp_eq_u64_e32 vcc_lo, 0, v[1:2]
	v_dual_cndmask_b32 v2, v2, v11 :: v_dual_cndmask_b32 v1, v1, v10
	v_and_b32_e32 v4, v2, v4
	s_delay_alu instid0(VALU_DEP_2) | instskip(NEXT) | instid1(VALU_DEP_2)
	v_and_b32_e32 v3, v1, v3
	v_mul_lo_u32 v4, v4, 24
	s_delay_alu instid0(VALU_DEP_2) | instskip(SKIP_1) | instid1(VALU_DEP_2)
	v_mul_hi_u32 v10, v3, 24
	v_mul_lo_u32 v3, v3, 24
	v_add_nc_u32_e32 v4, v10, v4
	s_waitcnt vmcnt(0)
	s_delay_alu instid0(VALU_DEP_2) | instskip(SKIP_1) | instid1(VALU_DEP_3)
	v_add_co_u32 v5, vcc_lo, v5, v3
	v_mov_b32_e32 v3, v8
	v_add_co_ci_u32_e32 v6, vcc_lo, v6, v4, vcc_lo
	v_mov_b32_e32 v4, v9
	global_store_b64 v[5:6], v[8:9], off
	s_waitcnt_vscnt null, 0x0
	global_atomic_cmpswap_b64 v[3:4], v7, v[1:4], s[4:5] offset:24 glc
	s_waitcnt vmcnt(0)
	v_cmp_ne_u64_e32 vcc_lo, v[3:4], v[8:9]
	s_and_b32 exec_lo, exec_lo, vcc_lo
	s_cbranch_execz .LBB6_2390
; %bb.2388:
	s_mov_b32 s1, 0
.LBB6_2389:                             ; =>This Inner Loop Header: Depth=1
	s_sleep 1
	global_store_b64 v[5:6], v[3:4], off
	s_waitcnt_vscnt null, 0x0
	global_atomic_cmpswap_b64 v[8:9], v7, v[1:4], s[4:5] offset:24 glc
	s_waitcnt vmcnt(0)
	v_cmp_eq_u64_e32 vcc_lo, v[8:9], v[3:4]
	v_dual_mov_b32 v3, v8 :: v_dual_mov_b32 v4, v9
	s_or_b32 s1, vcc_lo, s1
	s_delay_alu instid0(SALU_CYCLE_1)
	s_and_not1_b32 exec_lo, exec_lo, s1
	s_cbranch_execnz .LBB6_2389
.LBB6_2390:
	s_or_b32 exec_lo, exec_lo, s16
	v_or_b32_e32 v0, v0, v40
	s_xor_b32 s0, s0, -1
	s_mov_b32 s19, 0
                                        ; implicit-def: $vgpr40
	s_delay_alu instid0(VALU_DEP_1) | instskip(SKIP_1) | instid1(SALU_CYCLE_1)
	v_cmp_lt_i32_e32 vcc_lo, -1, v0
	s_and_b32 s0, vcc_lo, s0
	s_and_saveexec_b32 s1, s0
	s_delay_alu instid0(SALU_CYCLE_1)
	s_xor_b32 s0, exec_lo, s1
	s_cbranch_execz .LBB6_2392
; %bb.2391:
	flat_load_b32 v0, v[44:45]
	v_lshl_or_b32 v32, v34, 1, 1
	s_mov_b32 s19, exec_lo
	s_waitcnt vmcnt(0) lgkmcnt(0)
	v_ashrrev_i32_e32 v1, 31, v0
	v_add_nc_u32_e32 v3, 1, v0
	v_lshl_or_b32 v40, v0, 1, 1
	s_delay_alu instid0(VALU_DEP_3) | instskip(NEXT) | instid1(VALU_DEP_1)
	v_lshlrev_b64 v[1:2], 3, v[0:1]
	v_add_co_u32 v1, vcc_lo, v44, v1
	s_delay_alu instid0(VALU_DEP_2)
	v_add_co_ci_u32_e32 v2, vcc_lo, v45, v2, vcc_lo
	s_clause 0x1
	flat_store_b32 v[44:45], v3
	flat_store_b64 v[1:2], v[32:33] offset:8
.LBB6_2392:
	s_or_saveexec_b32 s20, s0
	s_mov_b32 s0, s17
	s_xor_b32 exec_lo, exec_lo, s20
	s_cbranch_execz .LBB6_2394
; %bb.2393:
	s_getpc_b64 s[0:1]
	s_add_u32 s0, s0, .str.46@rel32@lo+4
	s_addc_u32 s1, s1, .str.46@rel32@hi+12
	s_getpc_b64 s[2:3]
	s_add_u32 s2, s2, .str.44@rel32@lo+4
	s_addc_u32 s3, s3, .str.44@rel32@hi+12
	s_getpc_b64 s[4:5]
	s_add_u32 s4, s4, __PRETTY_FUNCTION__._ZN8subgUtil18formAndNodeKeyFlagEiii@rel32@lo+4
	s_addc_u32 s5, s5, __PRETTY_FUNCTION__._ZN8subgUtil18formAndNodeKeyFlagEiii@rel32@hi+12
	v_dual_mov_b32 v0, s0 :: v_dual_mov_b32 v1, s1
	v_dual_mov_b32 v2, s2 :: v_dual_mov_b32 v3, s3
	;; [unrolled: 1-line block ×3, first 2 shown]
	v_mov_b32_e32 v6, s5
	s_mov_b64 s[8:9], s[44:45]
	s_getpc_b64 s[6:7]
	s_add_u32 s6, s6, __assert_fail@rel32@lo+4
	s_addc_u32 s7, s7, __assert_fail@rel32@hi+12
	s_delay_alu instid0(SALU_CYCLE_1)
	s_swappc_b64 s[30:31], s[6:7]
	s_or_b32 s0, s17, exec_lo
                                        ; implicit-def: $vgpr40
.LBB6_2394:
	s_or_b32 exec_lo, exec_lo, s20
	s_delay_alu instid0(SALU_CYCLE_1) | instskip(SKIP_1) | instid1(SALU_CYCLE_1)
	s_and_not1_b32 s1, s17, exec_lo
	s_and_b32 s0, s0, exec_lo
	s_or_b32 s17, s1, s0
	s_and_b32 s0, s19, exec_lo
.LBB6_2395:
	s_or_b32 exec_lo, exec_lo, s18
	s_delay_alu instid0(SALU_CYCLE_1)
	s_and_not1_b32 s1, s34, exec_lo
	s_and_b32 s2, s17, exec_lo
	s_or_not1_b32 s0, s0, exec_lo
	s_or_b32 s1, s1, s2
.LBB6_2396:
	s_or_b32 exec_lo, exec_lo, s38
	s_and_saveexec_b32 s2, s0
	s_delay_alu instid0(SALU_CYCLE_1)
	s_xor_b32 s0, exec_lo, s2
; %bb.2397:
	s_mov_b32 s37, exec_lo
; %bb.2398:
	s_or_b32 exec_lo, exec_lo, s0
	s_delay_alu instid0(SALU_CYCLE_1)
	s_and_not1_b32 s0, s34, exec_lo
	s_and_b32 s1, s1, exec_lo
	s_and_b32 s17, s37, exec_lo
	s_or_b32 s18, s0, s1
.LBB6_2399:
	s_and_not1_saveexec_b32 s19, s36
	s_cbranch_execz .LBB6_2401
; %bb.2400:
	s_getpc_b64 s[0:1]
	s_add_u32 s0, s0, .str.46@rel32@lo+4
	s_addc_u32 s1, s1, .str.46@rel32@hi+12
	s_getpc_b64 s[2:3]
	s_add_u32 s2, s2, .str.44@rel32@lo+4
	s_addc_u32 s3, s3, .str.44@rel32@hi+12
	s_getpc_b64 s[4:5]
	s_add_u32 s4, s4, __PRETTY_FUNCTION__._ZN8subgUtil18formAndNodeKeyFlagEiii@rel32@lo+4
	s_addc_u32 s5, s5, __PRETTY_FUNCTION__._ZN8subgUtil18formAndNodeKeyFlagEiii@rel32@hi+12
	v_dual_mov_b32 v0, s0 :: v_dual_mov_b32 v1, s1
	v_dual_mov_b32 v2, s2 :: v_dual_mov_b32 v3, s3
	;; [unrolled: 1-line block ×3, first 2 shown]
	v_mov_b32_e32 v6, s5
	s_mov_b64 s[8:9], s[44:45]
	s_getpc_b64 s[6:7]
	s_add_u32 s6, s6, __assert_fail@rel32@lo+4
	s_addc_u32 s7, s7, __assert_fail@rel32@hi+12
	s_delay_alu instid0(SALU_CYCLE_1)
	s_swappc_b64 s[30:31], s[6:7]
	s_or_b32 s18, s18, exec_lo
                                        ; implicit-def: $vgpr40
.LBB6_2401:
	s_or_b32 exec_lo, exec_lo, s19
	s_delay_alu instid0(SALU_CYCLE_1) | instskip(SKIP_1) | instid1(SALU_CYCLE_1)
	s_and_not1_b32 s0, s34, exec_lo
	s_and_b32 s1, s18, exec_lo
	s_or_b32 s34, s0, s1
	s_and_b32 s0, s17, exec_lo
.LBB6_2402:
	s_or_b32 exec_lo, exec_lo, s35
	s_delay_alu instid0(SALU_CYCLE_1) | instskip(SKIP_1) | instid1(SALU_CYCLE_1)
	s_and_not1_b32 s1, s51, exec_lo
	s_and_b32 s2, s34, exec_lo
	s_or_b32 s51, s1, s2
	s_and_b32 s1, s0, exec_lo
.LBB6_2403:
	s_or_b32 exec_lo, exec_lo, s52
	s_delay_alu instid0(SALU_CYCLE_1)
	s_and_not1_b32 s0, s49, exec_lo
	s_and_b32 s2, s51, exec_lo
	s_and_b32 s1, s1, exec_lo
	s_or_b32 s49, s0, s2
.LBB6_2404:
	s_or_b32 exec_lo, exec_lo, s50
	v_readlane_b32 s0, v56, 29
	s_and_b32 s2, s49, exec_lo
	s_and_b32 s17, s1, exec_lo
	s_delay_alu instid0(VALU_DEP_1) | instskip(NEXT) | instid1(SALU_CYCLE_1)
	s_and_not1_b32 s0, s0, exec_lo
	s_or_b32 s18, s0, s2
.LBB6_2405:
	s_and_not1_saveexec_b32 s19, s48
	s_cbranch_execz .LBB6_2547
; %bb.2406:
	s_load_b64 s[2:3], s[44:45], 0x50
	v_mbcnt_lo_u32_b32 v29, -1, 0
	v_mov_b32_e32 v6, 0
	v_mov_b32_e32 v7, 0
	s_delay_alu instid0(VALU_DEP_3) | instskip(NEXT) | instid1(VALU_DEP_1)
	v_readfirstlane_b32 s0, v29
	v_cmp_eq_u32_e64 s0, s0, v29
	s_delay_alu instid0(VALU_DEP_1)
	s_and_saveexec_b32 s1, s0
	s_cbranch_execz .LBB6_2412
; %bb.2407:
	v_mov_b32_e32 v0, 0
	s_mov_b32 s4, exec_lo
	s_waitcnt lgkmcnt(0)
	global_load_b64 v[3:4], v0, s[2:3] offset:24 glc
	s_waitcnt vmcnt(0)
	buffer_gl1_inv
	buffer_gl0_inv
	s_clause 0x1
	global_load_b64 v[1:2], v0, s[2:3] offset:40
	global_load_b64 v[5:6], v0, s[2:3]
	s_waitcnt vmcnt(1)
	v_and_b32_e32 v1, v1, v3
	v_and_b32_e32 v2, v2, v4
	s_delay_alu instid0(VALU_DEP_2) | instskip(NEXT) | instid1(VALU_DEP_2)
	v_mul_hi_u32 v7, v1, 24
	v_mul_lo_u32 v2, v2, 24
	v_mul_lo_u32 v1, v1, 24
	s_delay_alu instid0(VALU_DEP_2) | instskip(SKIP_1) | instid1(VALU_DEP_2)
	v_add_nc_u32_e32 v2, v7, v2
	s_waitcnt vmcnt(0)
	v_add_co_u32 v1, vcc_lo, v5, v1
	s_delay_alu instid0(VALU_DEP_2)
	v_add_co_ci_u32_e32 v2, vcc_lo, v6, v2, vcc_lo
	global_load_b64 v[1:2], v[1:2], off glc
	s_waitcnt vmcnt(0)
	global_atomic_cmpswap_b64 v[6:7], v0, v[1:4], s[2:3] offset:24 glc
	s_waitcnt vmcnt(0)
	buffer_gl1_inv
	buffer_gl0_inv
	v_cmpx_ne_u64_e64 v[6:7], v[3:4]
	s_cbranch_execz .LBB6_2411
; %bb.2408:
	s_mov_b32 s5, 0
.LBB6_2409:                             ; =>This Inner Loop Header: Depth=1
	s_sleep 1
	s_clause 0x1
	global_load_b64 v[1:2], v0, s[2:3] offset:40
	global_load_b64 v[8:9], v0, s[2:3]
	v_dual_mov_b32 v3, v6 :: v_dual_mov_b32 v4, v7
	s_waitcnt vmcnt(1)
	s_delay_alu instid0(VALU_DEP_1) | instskip(NEXT) | instid1(VALU_DEP_2)
	v_and_b32_e32 v1, v1, v3
	v_and_b32_e32 v2, v2, v4
	s_waitcnt vmcnt(0)
	s_delay_alu instid0(VALU_DEP_2) | instskip(NEXT) | instid1(VALU_DEP_1)
	v_mad_u64_u32 v[5:6], null, v1, 24, v[8:9]
	v_mov_b32_e32 v1, v6
	s_delay_alu instid0(VALU_DEP_1)
	v_mad_u64_u32 v[6:7], null, v2, 24, v[1:2]
	global_load_b64 v[1:2], v[5:6], off glc
	s_waitcnt vmcnt(0)
	global_atomic_cmpswap_b64 v[6:7], v0, v[1:4], s[2:3] offset:24 glc
	s_waitcnt vmcnt(0)
	buffer_gl1_inv
	buffer_gl0_inv
	v_cmp_eq_u64_e32 vcc_lo, v[6:7], v[3:4]
	s_or_b32 s5, vcc_lo, s5
	s_delay_alu instid0(SALU_CYCLE_1)
	s_and_not1_b32 exec_lo, exec_lo, s5
	s_cbranch_execnz .LBB6_2409
; %bb.2410:
	s_or_b32 exec_lo, exec_lo, s5
.LBB6_2411:
	s_delay_alu instid0(SALU_CYCLE_1)
	s_or_b32 exec_lo, exec_lo, s4
.LBB6_2412:
	s_delay_alu instid0(SALU_CYCLE_1)
	s_or_b32 exec_lo, exec_lo, s1
	v_mov_b32_e32 v5, 0
	v_readfirstlane_b32 s4, v6
	v_readfirstlane_b32 s5, v7
	s_mov_b32 s1, exec_lo
	s_waitcnt lgkmcnt(0)
	s_clause 0x1
	global_load_b64 v[8:9], v5, s[2:3] offset:40
	global_load_b128 v[0:3], v5, s[2:3]
	s_waitcnt vmcnt(1)
	v_readfirstlane_b32 s6, v8
	v_readfirstlane_b32 s7, v9
	s_delay_alu instid0(VALU_DEP_1) | instskip(NEXT) | instid1(SALU_CYCLE_1)
	s_and_b64 s[6:7], s[4:5], s[6:7]
	s_mul_i32 s8, s7, 24
	s_mul_hi_u32 s9, s6, 24
	s_mul_i32 s10, s6, 24
	s_add_i32 s9, s9, s8
	s_waitcnt vmcnt(0)
	v_add_co_u32 v8, vcc_lo, v0, s10
	v_add_co_ci_u32_e32 v9, vcc_lo, s9, v1, vcc_lo
	s_and_saveexec_b32 s8, s0
	s_cbranch_execz .LBB6_2414
; %bb.2413:
	v_dual_mov_b32 v4, s1 :: v_dual_mov_b32 v7, 1
	v_mov_b32_e32 v6, 2
	global_store_b128 v[8:9], v[4:7], off offset:8
.LBB6_2414:
	s_or_b32 exec_lo, exec_lo, s8
	s_lshl_b64 s[6:7], s[6:7], 12
	v_dual_mov_b32 v7, v5 :: v_dual_lshlrev_b32 v28, 6, v29
	v_add_co_u32 v2, vcc_lo, v2, s6
	v_add_co_ci_u32_e32 v3, vcc_lo, s7, v3, vcc_lo
	s_mov_b32 s8, 0
	s_delay_alu instid0(VALU_DEP_2)
	v_add_co_u32 v10, vcc_lo, v2, v28
	s_mov_b32 s11, s8
	s_mov_b32 s9, s8
	;; [unrolled: 1-line block ×3, first 2 shown]
	v_dual_mov_b32 v4, 33 :: v_dual_mov_b32 v15, s11
	v_dual_mov_b32 v6, v5 :: v_dual_mov_b32 v13, s9
	v_readfirstlane_b32 s6, v2
	v_readfirstlane_b32 s7, v3
	v_add_co_ci_u32_e32 v11, vcc_lo, 0, v3, vcc_lo
	v_mov_b32_e32 v14, s10
	v_mov_b32_e32 v12, s8
	s_clause 0x3
	global_store_b128 v28, v[4:7], s[6:7]
	global_store_b128 v28, v[12:15], s[6:7] offset:16
	global_store_b128 v28, v[12:15], s[6:7] offset:32
	;; [unrolled: 1-line block ×3, first 2 shown]
	s_and_saveexec_b32 s1, s0
	s_cbranch_execz .LBB6_2422
; %bb.2415:
	v_mov_b32_e32 v6, 0
	s_mov_b32 s6, exec_lo
	s_clause 0x1
	global_load_b64 v[14:15], v6, s[2:3] offset:32 glc
	global_load_b64 v[2:3], v6, s[2:3] offset:40
	v_dual_mov_b32 v13, s5 :: v_dual_mov_b32 v12, s4
	s_waitcnt vmcnt(0)
	v_and_b32_e32 v3, s5, v3
	v_and_b32_e32 v2, s4, v2
	s_delay_alu instid0(VALU_DEP_2) | instskip(NEXT) | instid1(VALU_DEP_2)
	v_mul_lo_u32 v3, v3, 24
	v_mul_hi_u32 v4, v2, 24
	v_mul_lo_u32 v2, v2, 24
	s_delay_alu instid0(VALU_DEP_2) | instskip(NEXT) | instid1(VALU_DEP_2)
	v_add_nc_u32_e32 v3, v4, v3
	v_add_co_u32 v4, vcc_lo, v0, v2
	s_delay_alu instid0(VALU_DEP_2)
	v_add_co_ci_u32_e32 v5, vcc_lo, v1, v3, vcc_lo
	global_store_b64 v[4:5], v[14:15], off
	s_waitcnt_vscnt null, 0x0
	global_atomic_cmpswap_b64 v[2:3], v6, v[12:15], s[2:3] offset:32 glc
	s_waitcnt vmcnt(0)
	v_cmpx_ne_u64_e64 v[2:3], v[14:15]
	s_cbranch_execz .LBB6_2418
; %bb.2416:
	s_mov_b32 s7, 0
.LBB6_2417:                             ; =>This Inner Loop Header: Depth=1
	v_dual_mov_b32 v0, s4 :: v_dual_mov_b32 v1, s5
	s_sleep 1
	global_store_b64 v[4:5], v[2:3], off
	s_waitcnt_vscnt null, 0x0
	global_atomic_cmpswap_b64 v[0:1], v6, v[0:3], s[2:3] offset:32 glc
	s_waitcnt vmcnt(0)
	v_cmp_eq_u64_e32 vcc_lo, v[0:1], v[2:3]
	v_dual_mov_b32 v3, v1 :: v_dual_mov_b32 v2, v0
	s_or_b32 s7, vcc_lo, s7
	s_delay_alu instid0(SALU_CYCLE_1)
	s_and_not1_b32 exec_lo, exec_lo, s7
	s_cbranch_execnz .LBB6_2417
.LBB6_2418:
	s_or_b32 exec_lo, exec_lo, s6
	v_mov_b32_e32 v3, 0
	s_mov_b32 s7, exec_lo
	s_mov_b32 s6, exec_lo
	v_mbcnt_lo_u32_b32 v2, s7, 0
	global_load_b64 v[0:1], v3, s[2:3] offset:16
	v_cmpx_eq_u32_e32 0, v2
	s_cbranch_execz .LBB6_2420
; %bb.2419:
	s_bcnt1_i32_b32 s7, s7
	s_delay_alu instid0(SALU_CYCLE_1)
	v_mov_b32_e32 v2, s7
	s_waitcnt vmcnt(0)
	global_atomic_add_u64 v[0:1], v[2:3], off offset:8
.LBB6_2420:
	s_or_b32 exec_lo, exec_lo, s6
	s_waitcnt vmcnt(0)
	global_load_b64 v[2:3], v[0:1], off offset:16
	s_waitcnt vmcnt(0)
	v_cmp_eq_u64_e32 vcc_lo, 0, v[2:3]
	s_cbranch_vccnz .LBB6_2422
; %bb.2421:
	global_load_b32 v0, v[0:1], off offset:24
	s_waitcnt vmcnt(0)
	v_dual_mov_b32 v1, 0 :: v_dual_and_b32 v4, 0xffffff, v0
	s_waitcnt_vscnt null, 0x0
	global_store_b64 v[2:3], v[0:1], off
	v_readfirstlane_b32 m0, v4
	s_sendmsg sendmsg(MSG_INTERRUPT)
.LBB6_2422:
	s_or_b32 exec_lo, exec_lo, s1
	s_branch .LBB6_2424
.LBB6_2423:
	s_branch .LBB6_2428
.LBB6_2424:                             ; =>This Inner Loop Header: Depth=1
	v_mov_b32_e32 v0, 1
	s_and_saveexec_b32 s1, s0
	s_cbranch_execz .LBB6_2426
; %bb.2425:                             ;   in Loop: Header=BB6_2424 Depth=1
	global_load_b32 v0, v[8:9], off offset:20 glc
	s_waitcnt vmcnt(0)
	buffer_gl1_inv
	buffer_gl0_inv
	v_and_b32_e32 v0, 1, v0
.LBB6_2426:                             ;   in Loop: Header=BB6_2424 Depth=1
	s_or_b32 exec_lo, exec_lo, s1
	s_delay_alu instid0(VALU_DEP_1) | instskip(NEXT) | instid1(VALU_DEP_1)
	v_readfirstlane_b32 s1, v0
	s_cmp_eq_u32 s1, 0
	s_cbranch_scc1 .LBB6_2423
; %bb.2427:                             ;   in Loop: Header=BB6_2424 Depth=1
	s_sleep 1
	s_cbranch_execnz .LBB6_2424
.LBB6_2428:
	global_load_b64 v[0:1], v[10:11], off
	s_and_saveexec_b32 s1, s0
	s_cbranch_execz .LBB6_2432
; %bb.2429:
	v_mov_b32_e32 v8, 0
	s_clause 0x2
	global_load_b64 v[4:5], v8, s[2:3] offset:40
	global_load_b64 v[9:10], v8, s[2:3] offset:24 glc
	global_load_b64 v[6:7], v8, s[2:3]
	s_waitcnt vmcnt(2)
	v_add_co_u32 v11, vcc_lo, v4, 1
	v_add_co_ci_u32_e32 v12, vcc_lo, 0, v5, vcc_lo
	s_delay_alu instid0(VALU_DEP_2) | instskip(NEXT) | instid1(VALU_DEP_2)
	v_add_co_u32 v2, vcc_lo, v11, s4
	v_add_co_ci_u32_e32 v3, vcc_lo, s5, v12, vcc_lo
	s_delay_alu instid0(VALU_DEP_1) | instskip(SKIP_1) | instid1(VALU_DEP_1)
	v_cmp_eq_u64_e32 vcc_lo, 0, v[2:3]
	v_dual_cndmask_b32 v3, v3, v12 :: v_dual_cndmask_b32 v2, v2, v11
	v_and_b32_e32 v5, v3, v5
	s_delay_alu instid0(VALU_DEP_2) | instskip(NEXT) | instid1(VALU_DEP_2)
	v_and_b32_e32 v4, v2, v4
	v_mul_lo_u32 v5, v5, 24
	s_delay_alu instid0(VALU_DEP_2) | instskip(SKIP_1) | instid1(VALU_DEP_2)
	v_mul_hi_u32 v11, v4, 24
	v_mul_lo_u32 v4, v4, 24
	v_add_nc_u32_e32 v5, v11, v5
	s_waitcnt vmcnt(0)
	s_delay_alu instid0(VALU_DEP_2) | instskip(SKIP_1) | instid1(VALU_DEP_3)
	v_add_co_u32 v6, vcc_lo, v6, v4
	v_mov_b32_e32 v4, v9
	v_add_co_ci_u32_e32 v7, vcc_lo, v7, v5, vcc_lo
	v_mov_b32_e32 v5, v10
	global_store_b64 v[6:7], v[9:10], off
	s_waitcnt_vscnt null, 0x0
	global_atomic_cmpswap_b64 v[4:5], v8, v[2:5], s[2:3] offset:24 glc
	s_waitcnt vmcnt(0)
	v_cmp_ne_u64_e32 vcc_lo, v[4:5], v[9:10]
	s_and_b32 exec_lo, exec_lo, vcc_lo
	s_cbranch_execz .LBB6_2432
; %bb.2430:
	s_mov_b32 s0, 0
.LBB6_2431:                             ; =>This Inner Loop Header: Depth=1
	s_sleep 1
	global_store_b64 v[6:7], v[4:5], off
	s_waitcnt_vscnt null, 0x0
	global_atomic_cmpswap_b64 v[9:10], v8, v[2:5], s[2:3] offset:24 glc
	s_waitcnt vmcnt(0)
	v_cmp_eq_u64_e32 vcc_lo, v[9:10], v[4:5]
	v_dual_mov_b32 v4, v9 :: v_dual_mov_b32 v5, v10
	s_or_b32 s0, vcc_lo, s0
	s_delay_alu instid0(SALU_CYCLE_1)
	s_and_not1_b32 exec_lo, exec_lo, s0
	s_cbranch_execnz .LBB6_2431
.LBB6_2432:
	s_or_b32 exec_lo, exec_lo, s1
	s_getpc_b64 s[4:5]
	s_add_u32 s4, s4, .str.28@rel32@lo+4
	s_addc_u32 s5, s5, .str.28@rel32@hi+12
	s_delay_alu instid0(SALU_CYCLE_1)
	s_cmp_lg_u64 s[4:5], 0
	s_cbranch_scc0 .LBB6_2517
; %bb.2433:
	s_waitcnt vmcnt(0)
	v_dual_mov_b32 v7, v1 :: v_dual_and_b32 v6, -3, v0
	v_dual_mov_b32 v3, 0 :: v_dual_mov_b32 v4, 2
	v_mov_b32_e32 v5, 1
	s_mov_b64 s[6:7], 35
	s_branch .LBB6_2435
.LBB6_2434:                             ;   in Loop: Header=BB6_2435 Depth=1
	s_or_b32 exec_lo, exec_lo, s1
	s_sub_u32 s6, s6, s8
	s_subb_u32 s7, s7, s9
	s_add_u32 s4, s4, s8
	s_addc_u32 s5, s5, s9
	s_cmp_lg_u64 s[6:7], 0
	s_cbranch_scc0 .LBB6_2516
.LBB6_2435:                             ; =>This Loop Header: Depth=1
                                        ;     Child Loop BB6_2438 Depth 2
                                        ;     Child Loop BB6_2443 Depth 2
	;; [unrolled: 1-line block ×11, first 2 shown]
	v_cmp_lt_u64_e64 s0, s[6:7], 56
	v_cmp_gt_u64_e64 s1, s[6:7], 7
                                        ; implicit-def: $sgpr14
	s_delay_alu instid0(VALU_DEP_2) | instskip(SKIP_2) | instid1(VALU_DEP_1)
	s_and_b32 s0, s0, exec_lo
	s_cselect_b32 s9, s7, 0
	s_cselect_b32 s8, s6, 56
	s_and_b32 vcc_lo, exec_lo, s1
	s_mov_b32 s0, -1
	s_cbranch_vccnz .LBB6_2445
; %bb.2436:                             ;   in Loop: Header=BB6_2435 Depth=1
	s_waitcnt vmcnt(0)
	v_mov_b32_e32 v8, 0
	v_mov_b32_e32 v9, 0
	s_cmp_eq_u64 s[6:7], 0
	s_mov_b64 s[0:1], 0
	s_cbranch_scc1 .LBB6_2439
; %bb.2437:                             ;   in Loop: Header=BB6_2435 Depth=1
	v_mov_b32_e32 v8, 0
	v_mov_b32_e32 v9, 0
	s_lshl_b64 s[10:11], s[8:9], 3
	s_mov_b64 s[12:13], s[4:5]
.LBB6_2438:                             ;   Parent Loop BB6_2435 Depth=1
                                        ; =>  This Inner Loop Header: Depth=2
	global_load_u8 v2, v3, s[12:13]
	s_waitcnt vmcnt(0)
	v_and_b32_e32 v2, 0xffff, v2
	s_delay_alu instid0(VALU_DEP_1)
	v_lshlrev_b64 v[10:11], s0, v[2:3]
	s_add_u32 s0, s0, 8
	s_addc_u32 s1, s1, 0
	s_add_u32 s12, s12, 1
	s_addc_u32 s13, s13, 0
	s_cmp_lg_u32 s10, s0
	v_or_b32_e32 v8, v10, v8
	v_or_b32_e32 v9, v11, v9
	s_cbranch_scc1 .LBB6_2438
.LBB6_2439:                             ;   in Loop: Header=BB6_2435 Depth=1
	s_mov_b32 s14, 0
	s_mov_b64 s[0:1], s[4:5]
	s_cbranch_execz .LBB6_2446
.LBB6_2440:                             ;   in Loop: Header=BB6_2435 Depth=1
	s_cmp_gt_u32 s14, 7
	s_cbranch_scc1 .LBB6_2447
.LBB6_2441:                             ;   in Loop: Header=BB6_2435 Depth=1
	v_mov_b32_e32 v10, 0
	v_mov_b32_e32 v11, 0
	s_cmp_eq_u32 s14, 0
	s_cbranch_scc1 .LBB6_2444
; %bb.2442:                             ;   in Loop: Header=BB6_2435 Depth=1
	s_mov_b64 s[10:11], 0
	s_mov_b64 s[12:13], 0
.LBB6_2443:                             ;   Parent Loop BB6_2435 Depth=1
                                        ; =>  This Inner Loop Header: Depth=2
	s_delay_alu instid0(SALU_CYCLE_1)
	s_add_u32 s20, s0, s12
	s_addc_u32 s21, s1, s13
	s_add_u32 s12, s12, 1
	global_load_u8 v2, v3, s[20:21]
	s_addc_u32 s13, s13, 0
	s_waitcnt vmcnt(0)
	v_and_b32_e32 v2, 0xffff, v2
	s_delay_alu instid0(VALU_DEP_1) | instskip(SKIP_3) | instid1(VALU_DEP_1)
	v_lshlrev_b64 v[12:13], s10, v[2:3]
	s_add_u32 s10, s10, 8
	s_addc_u32 s11, s11, 0
	s_cmp_lg_u32 s14, s12
	v_or_b32_e32 v10, v12, v10
	s_delay_alu instid0(VALU_DEP_2)
	v_or_b32_e32 v11, v13, v11
	s_cbranch_scc1 .LBB6_2443
.LBB6_2444:                             ;   in Loop: Header=BB6_2435 Depth=1
	s_mov_b32 s10, 0
	s_mov_b32 s15, 0
	s_branch .LBB6_2448
.LBB6_2445:                             ;   in Loop: Header=BB6_2435 Depth=1
	s_and_not1_b32 vcc_lo, exec_lo, s0
	s_mov_b64 s[0:1], s[4:5]
	s_cbranch_vccnz .LBB6_2440
.LBB6_2446:                             ;   in Loop: Header=BB6_2435 Depth=1
	global_load_b64 v[8:9], v3, s[4:5]
	s_add_i32 s14, s8, -8
	s_add_u32 s0, s4, 8
	s_addc_u32 s1, s5, 0
	s_cmp_gt_u32 s14, 7
	s_cbranch_scc0 .LBB6_2441
.LBB6_2447:                             ;   in Loop: Header=BB6_2435 Depth=1
	s_mov_b32 s10, -1
                                        ; implicit-def: $vgpr10_vgpr11
                                        ; implicit-def: $sgpr15
.LBB6_2448:                             ;   in Loop: Header=BB6_2435 Depth=1
	s_delay_alu instid0(SALU_CYCLE_1)
	s_and_not1_b32 vcc_lo, exec_lo, s10
	s_cbranch_vccnz .LBB6_2450
; %bb.2449:                             ;   in Loop: Header=BB6_2435 Depth=1
	global_load_b64 v[10:11], v3, s[0:1]
	s_add_i32 s15, s14, -8
	s_add_u32 s0, s0, 8
	s_addc_u32 s1, s1, 0
.LBB6_2450:                             ;   in Loop: Header=BB6_2435 Depth=1
	s_cmp_gt_u32 s15, 7
	s_cbranch_scc1 .LBB6_2455
; %bb.2451:                             ;   in Loop: Header=BB6_2435 Depth=1
	v_mov_b32_e32 v12, 0
	v_mov_b32_e32 v13, 0
	s_cmp_eq_u32 s15, 0
	s_cbranch_scc1 .LBB6_2454
; %bb.2452:                             ;   in Loop: Header=BB6_2435 Depth=1
	s_mov_b64 s[10:11], 0
	s_mov_b64 s[12:13], 0
.LBB6_2453:                             ;   Parent Loop BB6_2435 Depth=1
                                        ; =>  This Inner Loop Header: Depth=2
	s_delay_alu instid0(SALU_CYCLE_1)
	s_add_u32 s20, s0, s12
	s_addc_u32 s21, s1, s13
	s_add_u32 s12, s12, 1
	global_load_u8 v2, v3, s[20:21]
	s_addc_u32 s13, s13, 0
	s_waitcnt vmcnt(0)
	v_and_b32_e32 v2, 0xffff, v2
	s_delay_alu instid0(VALU_DEP_1) | instskip(SKIP_3) | instid1(VALU_DEP_1)
	v_lshlrev_b64 v[14:15], s10, v[2:3]
	s_add_u32 s10, s10, 8
	s_addc_u32 s11, s11, 0
	s_cmp_lg_u32 s15, s12
	v_or_b32_e32 v12, v14, v12
	s_delay_alu instid0(VALU_DEP_2)
	v_or_b32_e32 v13, v15, v13
	s_cbranch_scc1 .LBB6_2453
.LBB6_2454:                             ;   in Loop: Header=BB6_2435 Depth=1
	s_mov_b32 s10, 0
	s_mov_b32 s14, 0
	s_branch .LBB6_2456
.LBB6_2455:                             ;   in Loop: Header=BB6_2435 Depth=1
	s_mov_b32 s10, -1
                                        ; implicit-def: $sgpr14
.LBB6_2456:                             ;   in Loop: Header=BB6_2435 Depth=1
	s_delay_alu instid0(SALU_CYCLE_1)
	s_and_not1_b32 vcc_lo, exec_lo, s10
	s_cbranch_vccnz .LBB6_2458
; %bb.2457:                             ;   in Loop: Header=BB6_2435 Depth=1
	global_load_b64 v[12:13], v3, s[0:1]
	s_add_i32 s14, s15, -8
	s_add_u32 s0, s0, 8
	s_addc_u32 s1, s1, 0
.LBB6_2458:                             ;   in Loop: Header=BB6_2435 Depth=1
	s_cmp_gt_u32 s14, 7
	s_cbranch_scc1 .LBB6_2463
; %bb.2459:                             ;   in Loop: Header=BB6_2435 Depth=1
	v_mov_b32_e32 v14, 0
	v_mov_b32_e32 v15, 0
	s_cmp_eq_u32 s14, 0
	s_cbranch_scc1 .LBB6_2462
; %bb.2460:                             ;   in Loop: Header=BB6_2435 Depth=1
	s_mov_b64 s[10:11], 0
	s_mov_b64 s[12:13], 0
.LBB6_2461:                             ;   Parent Loop BB6_2435 Depth=1
                                        ; =>  This Inner Loop Header: Depth=2
	s_delay_alu instid0(SALU_CYCLE_1)
	s_add_u32 s20, s0, s12
	s_addc_u32 s21, s1, s13
	s_add_u32 s12, s12, 1
	global_load_u8 v2, v3, s[20:21]
	s_addc_u32 s13, s13, 0
	s_waitcnt vmcnt(0)
	v_and_b32_e32 v2, 0xffff, v2
	s_delay_alu instid0(VALU_DEP_1) | instskip(SKIP_3) | instid1(VALU_DEP_1)
	v_lshlrev_b64 v[16:17], s10, v[2:3]
	s_add_u32 s10, s10, 8
	s_addc_u32 s11, s11, 0
	s_cmp_lg_u32 s14, s12
	v_or_b32_e32 v14, v16, v14
	s_delay_alu instid0(VALU_DEP_2)
	v_or_b32_e32 v15, v17, v15
	s_cbranch_scc1 .LBB6_2461
.LBB6_2462:                             ;   in Loop: Header=BB6_2435 Depth=1
	s_mov_b32 s10, 0
	s_mov_b32 s15, 0
	s_branch .LBB6_2464
.LBB6_2463:                             ;   in Loop: Header=BB6_2435 Depth=1
	s_mov_b32 s10, -1
                                        ; implicit-def: $vgpr14_vgpr15
                                        ; implicit-def: $sgpr15
.LBB6_2464:                             ;   in Loop: Header=BB6_2435 Depth=1
	s_delay_alu instid0(SALU_CYCLE_1)
	s_and_not1_b32 vcc_lo, exec_lo, s10
	s_cbranch_vccnz .LBB6_2466
; %bb.2465:                             ;   in Loop: Header=BB6_2435 Depth=1
	global_load_b64 v[14:15], v3, s[0:1]
	s_add_i32 s15, s14, -8
	s_add_u32 s0, s0, 8
	s_addc_u32 s1, s1, 0
.LBB6_2466:                             ;   in Loop: Header=BB6_2435 Depth=1
	s_cmp_gt_u32 s15, 7
	s_cbranch_scc1 .LBB6_2471
; %bb.2467:                             ;   in Loop: Header=BB6_2435 Depth=1
	v_mov_b32_e32 v16, 0
	v_mov_b32_e32 v17, 0
	s_cmp_eq_u32 s15, 0
	s_cbranch_scc1 .LBB6_2470
; %bb.2468:                             ;   in Loop: Header=BB6_2435 Depth=1
	s_mov_b64 s[10:11], 0
	s_mov_b64 s[12:13], 0
.LBB6_2469:                             ;   Parent Loop BB6_2435 Depth=1
                                        ; =>  This Inner Loop Header: Depth=2
	s_delay_alu instid0(SALU_CYCLE_1)
	s_add_u32 s20, s0, s12
	s_addc_u32 s21, s1, s13
	s_add_u32 s12, s12, 1
	global_load_u8 v2, v3, s[20:21]
	s_addc_u32 s13, s13, 0
	s_waitcnt vmcnt(0)
	v_and_b32_e32 v2, 0xffff, v2
	s_delay_alu instid0(VALU_DEP_1) | instskip(SKIP_3) | instid1(VALU_DEP_1)
	v_lshlrev_b64 v[18:19], s10, v[2:3]
	s_add_u32 s10, s10, 8
	s_addc_u32 s11, s11, 0
	s_cmp_lg_u32 s15, s12
	v_or_b32_e32 v16, v18, v16
	s_delay_alu instid0(VALU_DEP_2)
	v_or_b32_e32 v17, v19, v17
	s_cbranch_scc1 .LBB6_2469
.LBB6_2470:                             ;   in Loop: Header=BB6_2435 Depth=1
	s_mov_b32 s10, 0
	s_mov_b32 s14, 0
	s_branch .LBB6_2472
.LBB6_2471:                             ;   in Loop: Header=BB6_2435 Depth=1
	s_mov_b32 s10, -1
                                        ; implicit-def: $sgpr14
.LBB6_2472:                             ;   in Loop: Header=BB6_2435 Depth=1
	s_delay_alu instid0(SALU_CYCLE_1)
	s_and_not1_b32 vcc_lo, exec_lo, s10
	s_cbranch_vccnz .LBB6_2474
; %bb.2473:                             ;   in Loop: Header=BB6_2435 Depth=1
	global_load_b64 v[16:17], v3, s[0:1]
	s_add_i32 s14, s15, -8
	s_add_u32 s0, s0, 8
	s_addc_u32 s1, s1, 0
.LBB6_2474:                             ;   in Loop: Header=BB6_2435 Depth=1
	s_cmp_gt_u32 s14, 7
	s_cbranch_scc1 .LBB6_2479
; %bb.2475:                             ;   in Loop: Header=BB6_2435 Depth=1
	v_mov_b32_e32 v18, 0
	v_mov_b32_e32 v19, 0
	s_cmp_eq_u32 s14, 0
	s_cbranch_scc1 .LBB6_2478
; %bb.2476:                             ;   in Loop: Header=BB6_2435 Depth=1
	s_mov_b64 s[10:11], 0
	s_mov_b64 s[12:13], 0
.LBB6_2477:                             ;   Parent Loop BB6_2435 Depth=1
                                        ; =>  This Inner Loop Header: Depth=2
	s_delay_alu instid0(SALU_CYCLE_1)
	s_add_u32 s20, s0, s12
	s_addc_u32 s21, s1, s13
	s_add_u32 s12, s12, 1
	global_load_u8 v2, v3, s[20:21]
	s_addc_u32 s13, s13, 0
	s_waitcnt vmcnt(0)
	v_and_b32_e32 v2, 0xffff, v2
	s_delay_alu instid0(VALU_DEP_1) | instskip(SKIP_3) | instid1(VALU_DEP_1)
	v_lshlrev_b64 v[20:21], s10, v[2:3]
	s_add_u32 s10, s10, 8
	s_addc_u32 s11, s11, 0
	s_cmp_lg_u32 s14, s12
	v_or_b32_e32 v18, v20, v18
	s_delay_alu instid0(VALU_DEP_2)
	v_or_b32_e32 v19, v21, v19
	s_cbranch_scc1 .LBB6_2477
.LBB6_2478:                             ;   in Loop: Header=BB6_2435 Depth=1
	s_mov_b32 s10, 0
	s_mov_b32 s15, 0
	s_branch .LBB6_2480
.LBB6_2479:                             ;   in Loop: Header=BB6_2435 Depth=1
	s_mov_b32 s10, -1
                                        ; implicit-def: $vgpr18_vgpr19
                                        ; implicit-def: $sgpr15
.LBB6_2480:                             ;   in Loop: Header=BB6_2435 Depth=1
	s_delay_alu instid0(SALU_CYCLE_1)
	s_and_not1_b32 vcc_lo, exec_lo, s10
	s_cbranch_vccnz .LBB6_2482
; %bb.2481:                             ;   in Loop: Header=BB6_2435 Depth=1
	global_load_b64 v[18:19], v3, s[0:1]
	s_add_i32 s15, s14, -8
	s_add_u32 s0, s0, 8
	s_addc_u32 s1, s1, 0
.LBB6_2482:                             ;   in Loop: Header=BB6_2435 Depth=1
	s_cmp_gt_u32 s15, 7
	s_cbranch_scc1 .LBB6_2487
; %bb.2483:                             ;   in Loop: Header=BB6_2435 Depth=1
	v_mov_b32_e32 v20, 0
	v_mov_b32_e32 v21, 0
	s_cmp_eq_u32 s15, 0
	s_cbranch_scc1 .LBB6_2486
; %bb.2484:                             ;   in Loop: Header=BB6_2435 Depth=1
	s_mov_b64 s[10:11], 0
	s_mov_b64 s[12:13], s[0:1]
.LBB6_2485:                             ;   Parent Loop BB6_2435 Depth=1
                                        ; =>  This Inner Loop Header: Depth=2
	global_load_u8 v2, v3, s[12:13]
	s_add_i32 s15, s15, -1
	s_waitcnt vmcnt(0)
	v_and_b32_e32 v2, 0xffff, v2
	s_delay_alu instid0(VALU_DEP_1)
	v_lshlrev_b64 v[22:23], s10, v[2:3]
	s_add_u32 s10, s10, 8
	s_addc_u32 s11, s11, 0
	s_add_u32 s12, s12, 1
	s_addc_u32 s13, s13, 0
	s_cmp_lg_u32 s15, 0
	v_or_b32_e32 v20, v22, v20
	v_or_b32_e32 v21, v23, v21
	s_cbranch_scc1 .LBB6_2485
.LBB6_2486:                             ;   in Loop: Header=BB6_2435 Depth=1
	s_mov_b32 s10, 0
	s_branch .LBB6_2488
.LBB6_2487:                             ;   in Loop: Header=BB6_2435 Depth=1
	s_mov_b32 s10, -1
.LBB6_2488:                             ;   in Loop: Header=BB6_2435 Depth=1
	s_delay_alu instid0(SALU_CYCLE_1)
	s_and_not1_b32 vcc_lo, exec_lo, s10
	s_cbranch_vccnz .LBB6_2490
; %bb.2489:                             ;   in Loop: Header=BB6_2435 Depth=1
	global_load_b64 v[20:21], v3, s[0:1]
.LBB6_2490:                             ;   in Loop: Header=BB6_2435 Depth=1
	v_readfirstlane_b32 s0, v29
	v_mov_b32_e32 v26, 0
	v_mov_b32_e32 v27, 0
	s_delay_alu instid0(VALU_DEP_3) | instskip(NEXT) | instid1(VALU_DEP_1)
	v_cmp_eq_u32_e64 s0, s0, v29
	s_and_saveexec_b32 s1, s0
	s_cbranch_execz .LBB6_2496
; %bb.2491:                             ;   in Loop: Header=BB6_2435 Depth=1
	global_load_b64 v[24:25], v3, s[2:3] offset:24 glc
	s_waitcnt vmcnt(0)
	buffer_gl1_inv
	buffer_gl0_inv
	s_clause 0x1
	global_load_b64 v[22:23], v3, s[2:3] offset:40
	global_load_b64 v[26:27], v3, s[2:3]
	s_mov_b32 s10, exec_lo
	s_waitcnt vmcnt(1)
	v_and_b32_e32 v2, v23, v25
	v_and_b32_e32 v22, v22, v24
	s_delay_alu instid0(VALU_DEP_2) | instskip(NEXT) | instid1(VALU_DEP_2)
	v_mul_lo_u32 v2, v2, 24
	v_mul_hi_u32 v23, v22, 24
	v_mul_lo_u32 v22, v22, 24
	s_delay_alu instid0(VALU_DEP_2) | instskip(SKIP_1) | instid1(VALU_DEP_2)
	v_add_nc_u32_e32 v2, v23, v2
	s_waitcnt vmcnt(0)
	v_add_co_u32 v22, vcc_lo, v26, v22
	s_delay_alu instid0(VALU_DEP_2)
	v_add_co_ci_u32_e32 v23, vcc_lo, v27, v2, vcc_lo
	global_load_b64 v[22:23], v[22:23], off glc
	s_waitcnt vmcnt(0)
	global_atomic_cmpswap_b64 v[26:27], v3, v[22:25], s[2:3] offset:24 glc
	s_waitcnt vmcnt(0)
	buffer_gl1_inv
	buffer_gl0_inv
	v_cmpx_ne_u64_e64 v[26:27], v[24:25]
	s_cbranch_execz .LBB6_2495
; %bb.2492:                             ;   in Loop: Header=BB6_2435 Depth=1
	s_mov_b32 s11, 0
.LBB6_2493:                             ;   Parent Loop BB6_2435 Depth=1
                                        ; =>  This Inner Loop Header: Depth=2
	s_sleep 1
	s_clause 0x1
	global_load_b64 v[22:23], v3, s[2:3] offset:40
	global_load_b64 v[30:31], v3, s[2:3]
	v_dual_mov_b32 v24, v26 :: v_dual_mov_b32 v25, v27
	s_waitcnt vmcnt(1)
	s_delay_alu instid0(VALU_DEP_1) | instskip(SKIP_1) | instid1(VALU_DEP_1)
	v_and_b32_e32 v2, v22, v24
	s_waitcnt vmcnt(0)
	v_mad_u64_u32 v[26:27], null, v2, 24, v[30:31]
	v_and_b32_e32 v30, v23, v25
	s_delay_alu instid0(VALU_DEP_2) | instskip(NEXT) | instid1(VALU_DEP_1)
	v_mov_b32_e32 v2, v27
	v_mad_u64_u32 v[22:23], null, v30, 24, v[2:3]
	s_delay_alu instid0(VALU_DEP_1)
	v_mov_b32_e32 v27, v22
	global_load_b64 v[22:23], v[26:27], off glc
	s_waitcnt vmcnt(0)
	global_atomic_cmpswap_b64 v[26:27], v3, v[22:25], s[2:3] offset:24 glc
	s_waitcnt vmcnt(0)
	buffer_gl1_inv
	buffer_gl0_inv
	v_cmp_eq_u64_e32 vcc_lo, v[26:27], v[24:25]
	s_or_b32 s11, vcc_lo, s11
	s_delay_alu instid0(SALU_CYCLE_1)
	s_and_not1_b32 exec_lo, exec_lo, s11
	s_cbranch_execnz .LBB6_2493
; %bb.2494:                             ;   in Loop: Header=BB6_2435 Depth=1
	s_or_b32 exec_lo, exec_lo, s11
.LBB6_2495:                             ;   in Loop: Header=BB6_2435 Depth=1
	s_delay_alu instid0(SALU_CYCLE_1)
	s_or_b32 exec_lo, exec_lo, s10
.LBB6_2496:                             ;   in Loop: Header=BB6_2435 Depth=1
	s_delay_alu instid0(SALU_CYCLE_1)
	s_or_b32 exec_lo, exec_lo, s1
	s_clause 0x1
	global_load_b64 v[30:31], v3, s[2:3] offset:40
	global_load_b128 v[22:25], v3, s[2:3]
	v_readfirstlane_b32 s10, v26
	v_readfirstlane_b32 s11, v27
	s_mov_b32 s1, exec_lo
	s_waitcnt vmcnt(1)
	v_readfirstlane_b32 s12, v30
	v_readfirstlane_b32 s13, v31
	s_delay_alu instid0(VALU_DEP_1) | instskip(NEXT) | instid1(SALU_CYCLE_1)
	s_and_b64 s[12:13], s[10:11], s[12:13]
	s_mul_i32 s14, s13, 24
	s_mul_hi_u32 s15, s12, 24
	s_mul_i32 s16, s12, 24
	s_add_i32 s15, s15, s14
	s_waitcnt vmcnt(0)
	v_add_co_u32 v26, vcc_lo, v22, s16
	v_add_co_ci_u32_e32 v27, vcc_lo, s15, v23, vcc_lo
	s_and_saveexec_b32 s14, s0
	s_cbranch_execz .LBB6_2498
; %bb.2497:                             ;   in Loop: Header=BB6_2435 Depth=1
	v_mov_b32_e32 v2, s1
	global_store_b128 v[26:27], v[2:5], off offset:8
.LBB6_2498:                             ;   in Loop: Header=BB6_2435 Depth=1
	s_or_b32 exec_lo, exec_lo, s14
	s_lshl_b64 s[12:13], s[12:13], 12
	v_or_b32_e32 v2, 2, v6
	v_add_co_u32 v24, vcc_lo, v24, s12
	v_add_co_ci_u32_e32 v25, vcc_lo, s13, v25, vcc_lo
	v_cmp_gt_u64_e64 vcc_lo, s[6:7], 56
	s_lshl_b32 s1, s8, 2
	s_delay_alu instid0(VALU_DEP_3) | instskip(SKIP_4) | instid1(VALU_DEP_1)
	v_readfirstlane_b32 s12, v24
	s_add_i32 s1, s1, 28
	v_readfirstlane_b32 s13, v25
	s_and_b32 s1, s1, 0x1e0
	v_cndmask_b32_e32 v2, v2, v6, vcc_lo
	v_and_or_b32 v6, 0xffffff1f, v2, s1
	s_clause 0x3
	global_store_b128 v28, v[6:9], s[12:13]
	global_store_b128 v28, v[10:13], s[12:13] offset:16
	global_store_b128 v28, v[14:17], s[12:13] offset:32
	;; [unrolled: 1-line block ×3, first 2 shown]
	s_and_saveexec_b32 s1, s0
	s_cbranch_execz .LBB6_2506
; %bb.2499:                             ;   in Loop: Header=BB6_2435 Depth=1
	s_clause 0x1
	global_load_b64 v[14:15], v3, s[2:3] offset:32 glc
	global_load_b64 v[6:7], v3, s[2:3] offset:40
	v_dual_mov_b32 v12, s10 :: v_dual_mov_b32 v13, s11
	s_waitcnt vmcnt(0)
	v_readfirstlane_b32 s12, v6
	v_readfirstlane_b32 s13, v7
	s_delay_alu instid0(VALU_DEP_1) | instskip(NEXT) | instid1(SALU_CYCLE_1)
	s_and_b64 s[12:13], s[12:13], s[10:11]
	s_mul_i32 s13, s13, 24
	s_mul_hi_u32 s14, s12, 24
	s_mul_i32 s12, s12, 24
	s_add_i32 s14, s14, s13
	v_add_co_u32 v10, vcc_lo, v22, s12
	v_add_co_ci_u32_e32 v11, vcc_lo, s14, v23, vcc_lo
	s_mov_b32 s12, exec_lo
	global_store_b64 v[10:11], v[14:15], off
	s_waitcnt_vscnt null, 0x0
	global_atomic_cmpswap_b64 v[8:9], v3, v[12:15], s[2:3] offset:32 glc
	s_waitcnt vmcnt(0)
	v_cmpx_ne_u64_e64 v[8:9], v[14:15]
	s_cbranch_execz .LBB6_2502
; %bb.2500:                             ;   in Loop: Header=BB6_2435 Depth=1
	s_mov_b32 s13, 0
.LBB6_2501:                             ;   Parent Loop BB6_2435 Depth=1
                                        ; =>  This Inner Loop Header: Depth=2
	v_dual_mov_b32 v6, s10 :: v_dual_mov_b32 v7, s11
	s_sleep 1
	global_store_b64 v[10:11], v[8:9], off
	s_waitcnt_vscnt null, 0x0
	global_atomic_cmpswap_b64 v[6:7], v3, v[6:9], s[2:3] offset:32 glc
	s_waitcnt vmcnt(0)
	v_cmp_eq_u64_e32 vcc_lo, v[6:7], v[8:9]
	v_dual_mov_b32 v9, v7 :: v_dual_mov_b32 v8, v6
	s_or_b32 s13, vcc_lo, s13
	s_delay_alu instid0(SALU_CYCLE_1)
	s_and_not1_b32 exec_lo, exec_lo, s13
	s_cbranch_execnz .LBB6_2501
.LBB6_2502:                             ;   in Loop: Header=BB6_2435 Depth=1
	s_or_b32 exec_lo, exec_lo, s12
	global_load_b64 v[6:7], v3, s[2:3] offset:16
	s_mov_b32 s13, exec_lo
	s_mov_b32 s12, exec_lo
	v_mbcnt_lo_u32_b32 v2, s13, 0
	s_delay_alu instid0(VALU_DEP_1)
	v_cmpx_eq_u32_e32 0, v2
	s_cbranch_execz .LBB6_2504
; %bb.2503:                             ;   in Loop: Header=BB6_2435 Depth=1
	s_bcnt1_i32_b32 s13, s13
	s_delay_alu instid0(SALU_CYCLE_1)
	v_mov_b32_e32 v2, s13
	s_waitcnt vmcnt(0)
	global_atomic_add_u64 v[6:7], v[2:3], off offset:8
.LBB6_2504:                             ;   in Loop: Header=BB6_2435 Depth=1
	s_or_b32 exec_lo, exec_lo, s12
	s_waitcnt vmcnt(0)
	global_load_b64 v[8:9], v[6:7], off offset:16
	s_waitcnt vmcnt(0)
	v_cmp_eq_u64_e32 vcc_lo, 0, v[8:9]
	s_cbranch_vccnz .LBB6_2506
; %bb.2505:                             ;   in Loop: Header=BB6_2435 Depth=1
	global_load_b32 v2, v[6:7], off offset:24
	s_waitcnt vmcnt(0)
	v_and_b32_e32 v6, 0xffffff, v2
	s_waitcnt_vscnt null, 0x0
	global_store_b64 v[8:9], v[2:3], off
	v_readfirstlane_b32 m0, v6
	s_sendmsg sendmsg(MSG_INTERRUPT)
.LBB6_2506:                             ;   in Loop: Header=BB6_2435 Depth=1
	s_or_b32 exec_lo, exec_lo, s1
	v_add_co_u32 v6, vcc_lo, v24, v28
	v_add_co_ci_u32_e32 v7, vcc_lo, 0, v25, vcc_lo
	s_branch .LBB6_2508
.LBB6_2507:                             ;   in Loop: Header=BB6_2435 Depth=1
	s_branch .LBB6_2512
.LBB6_2508:                             ;   Parent Loop BB6_2435 Depth=1
                                        ; =>  This Inner Loop Header: Depth=2
	v_mov_b32_e32 v2, 1
	s_and_saveexec_b32 s1, s0
	s_cbranch_execz .LBB6_2510
; %bb.2509:                             ;   in Loop: Header=BB6_2508 Depth=2
	global_load_b32 v2, v[26:27], off offset:20 glc
	s_waitcnt vmcnt(0)
	buffer_gl1_inv
	buffer_gl0_inv
	v_and_b32_e32 v2, 1, v2
.LBB6_2510:                             ;   in Loop: Header=BB6_2508 Depth=2
	s_or_b32 exec_lo, exec_lo, s1
	s_delay_alu instid0(VALU_DEP_1) | instskip(NEXT) | instid1(VALU_DEP_1)
	v_readfirstlane_b32 s1, v2
	s_cmp_eq_u32 s1, 0
	s_cbranch_scc1 .LBB6_2507
; %bb.2511:                             ;   in Loop: Header=BB6_2508 Depth=2
	s_sleep 1
	s_cbranch_execnz .LBB6_2508
.LBB6_2512:                             ;   in Loop: Header=BB6_2435 Depth=1
	global_load_b128 v[6:9], v[6:7], off
	s_and_saveexec_b32 s1, s0
	s_cbranch_execz .LBB6_2434
; %bb.2513:                             ;   in Loop: Header=BB6_2435 Depth=1
	s_clause 0x2
	global_load_b64 v[10:11], v3, s[2:3] offset:40
	global_load_b64 v[14:15], v3, s[2:3] offset:24 glc
	global_load_b64 v[12:13], v3, s[2:3]
	s_waitcnt vmcnt(2)
	v_add_co_u32 v2, vcc_lo, v10, 1
	v_add_co_ci_u32_e32 v16, vcc_lo, 0, v11, vcc_lo
	s_delay_alu instid0(VALU_DEP_2) | instskip(NEXT) | instid1(VALU_DEP_2)
	v_add_co_u32 v8, vcc_lo, v2, s10
	v_add_co_ci_u32_e32 v9, vcc_lo, s11, v16, vcc_lo
	s_delay_alu instid0(VALU_DEP_1) | instskip(SKIP_1) | instid1(VALU_DEP_1)
	v_cmp_eq_u64_e32 vcc_lo, 0, v[8:9]
	v_dual_cndmask_b32 v9, v9, v16 :: v_dual_cndmask_b32 v8, v8, v2
	v_and_b32_e32 v2, v9, v11
	s_delay_alu instid0(VALU_DEP_2) | instskip(NEXT) | instid1(VALU_DEP_2)
	v_and_b32_e32 v10, v8, v10
	v_mul_lo_u32 v2, v2, 24
	s_delay_alu instid0(VALU_DEP_2) | instskip(SKIP_1) | instid1(VALU_DEP_2)
	v_mul_hi_u32 v11, v10, 24
	v_mul_lo_u32 v10, v10, 24
	v_add_nc_u32_e32 v2, v11, v2
	s_waitcnt vmcnt(1)
	v_mov_b32_e32 v11, v15
	s_waitcnt vmcnt(0)
	s_delay_alu instid0(VALU_DEP_3)
	v_add_co_u32 v12, vcc_lo, v12, v10
	v_mov_b32_e32 v10, v14
	v_add_co_ci_u32_e32 v13, vcc_lo, v13, v2, vcc_lo
	global_store_b64 v[12:13], v[14:15], off
	s_waitcnt_vscnt null, 0x0
	global_atomic_cmpswap_b64 v[10:11], v3, v[8:11], s[2:3] offset:24 glc
	s_waitcnt vmcnt(0)
	v_cmp_ne_u64_e32 vcc_lo, v[10:11], v[14:15]
	s_and_b32 exec_lo, exec_lo, vcc_lo
	s_cbranch_execz .LBB6_2434
; %bb.2514:                             ;   in Loop: Header=BB6_2435 Depth=1
	s_mov_b32 s0, 0
.LBB6_2515:                             ;   Parent Loop BB6_2435 Depth=1
                                        ; =>  This Inner Loop Header: Depth=2
	s_sleep 1
	global_store_b64 v[12:13], v[10:11], off
	s_waitcnt_vscnt null, 0x0
	global_atomic_cmpswap_b64 v[14:15], v3, v[8:11], s[2:3] offset:24 glc
	s_waitcnt vmcnt(0)
	v_cmp_eq_u64_e32 vcc_lo, v[14:15], v[10:11]
	v_dual_mov_b32 v10, v14 :: v_dual_mov_b32 v11, v15
	s_or_b32 s0, vcc_lo, s0
	s_delay_alu instid0(SALU_CYCLE_1)
	s_and_not1_b32 exec_lo, exec_lo, s0
	s_cbranch_execnz .LBB6_2515
	s_branch .LBB6_2434
.LBB6_2516:
	s_mov_b32 s0, 0
	s_branch .LBB6_2518
.LBB6_2517:
	s_mov_b32 s0, -1
.LBB6_2518:
	s_delay_alu instid0(SALU_CYCLE_1)
	s_and_b32 vcc_lo, exec_lo, s0
	s_cbranch_vccz .LBB6_2546
; %bb.2519:
	v_readfirstlane_b32 s0, v29
	s_waitcnt vmcnt(0)
	v_mov_b32_e32 v8, 0
	v_mov_b32_e32 v9, 0
	s_delay_alu instid0(VALU_DEP_3) | instskip(NEXT) | instid1(VALU_DEP_1)
	v_cmp_eq_u32_e64 s0, s0, v29
	s_and_saveexec_b32 s1, s0
	s_cbranch_execz .LBB6_2525
; %bb.2520:
	v_mov_b32_e32 v2, 0
	s_mov_b32 s4, exec_lo
	global_load_b64 v[5:6], v2, s[2:3] offset:24 glc
	s_waitcnt vmcnt(0)
	buffer_gl1_inv
	buffer_gl0_inv
	s_clause 0x1
	global_load_b64 v[3:4], v2, s[2:3] offset:40
	global_load_b64 v[7:8], v2, s[2:3]
	s_waitcnt vmcnt(1)
	v_and_b32_e32 v3, v3, v5
	v_and_b32_e32 v4, v4, v6
	s_delay_alu instid0(VALU_DEP_2) | instskip(NEXT) | instid1(VALU_DEP_2)
	v_mul_hi_u32 v9, v3, 24
	v_mul_lo_u32 v4, v4, 24
	v_mul_lo_u32 v3, v3, 24
	s_delay_alu instid0(VALU_DEP_2) | instskip(SKIP_1) | instid1(VALU_DEP_2)
	v_add_nc_u32_e32 v4, v9, v4
	s_waitcnt vmcnt(0)
	v_add_co_u32 v3, vcc_lo, v7, v3
	s_delay_alu instid0(VALU_DEP_2)
	v_add_co_ci_u32_e32 v4, vcc_lo, v8, v4, vcc_lo
	global_load_b64 v[3:4], v[3:4], off glc
	s_waitcnt vmcnt(0)
	global_atomic_cmpswap_b64 v[8:9], v2, v[3:6], s[2:3] offset:24 glc
	s_waitcnt vmcnt(0)
	buffer_gl1_inv
	buffer_gl0_inv
	v_cmpx_ne_u64_e64 v[8:9], v[5:6]
	s_cbranch_execz .LBB6_2524
; %bb.2521:
	s_mov_b32 s5, 0
.LBB6_2522:                             ; =>This Inner Loop Header: Depth=1
	s_sleep 1
	s_clause 0x1
	global_load_b64 v[3:4], v2, s[2:3] offset:40
	global_load_b64 v[10:11], v2, s[2:3]
	v_dual_mov_b32 v5, v8 :: v_dual_mov_b32 v6, v9
	s_waitcnt vmcnt(1)
	s_delay_alu instid0(VALU_DEP_1) | instskip(NEXT) | instid1(VALU_DEP_2)
	v_and_b32_e32 v3, v3, v5
	v_and_b32_e32 v4, v4, v6
	s_waitcnt vmcnt(0)
	s_delay_alu instid0(VALU_DEP_2) | instskip(NEXT) | instid1(VALU_DEP_1)
	v_mad_u64_u32 v[7:8], null, v3, 24, v[10:11]
	v_mov_b32_e32 v3, v8
	s_delay_alu instid0(VALU_DEP_1)
	v_mad_u64_u32 v[8:9], null, v4, 24, v[3:4]
	global_load_b64 v[3:4], v[7:8], off glc
	s_waitcnt vmcnt(0)
	global_atomic_cmpswap_b64 v[8:9], v2, v[3:6], s[2:3] offset:24 glc
	s_waitcnt vmcnt(0)
	buffer_gl1_inv
	buffer_gl0_inv
	v_cmp_eq_u64_e32 vcc_lo, v[8:9], v[5:6]
	s_or_b32 s5, vcc_lo, s5
	s_delay_alu instid0(SALU_CYCLE_1)
	s_and_not1_b32 exec_lo, exec_lo, s5
	s_cbranch_execnz .LBB6_2522
; %bb.2523:
	s_or_b32 exec_lo, exec_lo, s5
.LBB6_2524:
	s_delay_alu instid0(SALU_CYCLE_1)
	s_or_b32 exec_lo, exec_lo, s4
.LBB6_2525:
	s_delay_alu instid0(SALU_CYCLE_1)
	s_or_b32 exec_lo, exec_lo, s1
	v_mov_b32_e32 v2, 0
	v_readfirstlane_b32 s4, v8
	v_readfirstlane_b32 s5, v9
	s_mov_b32 s1, exec_lo
	s_clause 0x1
	global_load_b64 v[10:11], v2, s[2:3] offset:40
	global_load_b128 v[4:7], v2, s[2:3]
	s_waitcnt vmcnt(1)
	v_readfirstlane_b32 s6, v10
	v_readfirstlane_b32 s7, v11
	s_delay_alu instid0(VALU_DEP_1) | instskip(NEXT) | instid1(SALU_CYCLE_1)
	s_and_b64 s[6:7], s[4:5], s[6:7]
	s_mul_i32 s8, s7, 24
	s_mul_hi_u32 s9, s6, 24
	s_mul_i32 s10, s6, 24
	s_add_i32 s9, s9, s8
	s_waitcnt vmcnt(0)
	v_add_co_u32 v8, vcc_lo, v4, s10
	v_add_co_ci_u32_e32 v9, vcc_lo, s9, v5, vcc_lo
	s_and_saveexec_b32 s8, s0
	s_cbranch_execz .LBB6_2527
; %bb.2526:
	v_dual_mov_b32 v10, s1 :: v_dual_mov_b32 v11, v2
	v_dual_mov_b32 v12, 2 :: v_dual_mov_b32 v13, 1
	global_store_b128 v[8:9], v[10:13], off offset:8
.LBB6_2527:
	s_or_b32 exec_lo, exec_lo, s8
	s_lshl_b64 s[6:7], s[6:7], 12
	s_mov_b32 s8, 0
	v_add_co_u32 v6, vcc_lo, v6, s6
	v_add_co_ci_u32_e32 v7, vcc_lo, s7, v7, vcc_lo
	s_mov_b32 s11, s8
	s_mov_b32 s9, s8
	;; [unrolled: 1-line block ×3, first 2 shown]
	v_and_or_b32 v0, 0xffffff1d, v0, 34
	v_mov_b32_e32 v3, v2
	v_readfirstlane_b32 s6, v6
	v_readfirstlane_b32 s7, v7
	v_dual_mov_b32 v13, s11 :: v_dual_mov_b32 v10, s8
	v_dual_mov_b32 v12, s10 :: v_dual_mov_b32 v11, s9
	s_clause 0x3
	global_store_b128 v28, v[0:3], s[6:7]
	global_store_b128 v28, v[10:13], s[6:7] offset:16
	global_store_b128 v28, v[10:13], s[6:7] offset:32
	;; [unrolled: 1-line block ×3, first 2 shown]
	s_and_saveexec_b32 s1, s0
	s_cbranch_execz .LBB6_2535
; %bb.2528:
	v_dual_mov_b32 v6, 0 :: v_dual_mov_b32 v11, s5
	v_mov_b32_e32 v10, s4
	s_clause 0x1
	global_load_b64 v[12:13], v6, s[2:3] offset:32 glc
	global_load_b64 v[0:1], v6, s[2:3] offset:40
	s_waitcnt vmcnt(0)
	v_readfirstlane_b32 s6, v0
	v_readfirstlane_b32 s7, v1
	s_delay_alu instid0(VALU_DEP_1) | instskip(NEXT) | instid1(SALU_CYCLE_1)
	s_and_b64 s[6:7], s[6:7], s[4:5]
	s_mul_i32 s7, s7, 24
	s_mul_hi_u32 s8, s6, 24
	s_mul_i32 s6, s6, 24
	s_add_i32 s8, s8, s7
	v_add_co_u32 v4, vcc_lo, v4, s6
	v_add_co_ci_u32_e32 v5, vcc_lo, s8, v5, vcc_lo
	s_mov_b32 s6, exec_lo
	global_store_b64 v[4:5], v[12:13], off
	s_waitcnt_vscnt null, 0x0
	global_atomic_cmpswap_b64 v[2:3], v6, v[10:13], s[2:3] offset:32 glc
	s_waitcnt vmcnt(0)
	v_cmpx_ne_u64_e64 v[2:3], v[12:13]
	s_cbranch_execz .LBB6_2531
; %bb.2529:
	s_mov_b32 s7, 0
.LBB6_2530:                             ; =>This Inner Loop Header: Depth=1
	v_dual_mov_b32 v0, s4 :: v_dual_mov_b32 v1, s5
	s_sleep 1
	global_store_b64 v[4:5], v[2:3], off
	s_waitcnt_vscnt null, 0x0
	global_atomic_cmpswap_b64 v[0:1], v6, v[0:3], s[2:3] offset:32 glc
	s_waitcnt vmcnt(0)
	v_cmp_eq_u64_e32 vcc_lo, v[0:1], v[2:3]
	v_dual_mov_b32 v3, v1 :: v_dual_mov_b32 v2, v0
	s_or_b32 s7, vcc_lo, s7
	s_delay_alu instid0(SALU_CYCLE_1)
	s_and_not1_b32 exec_lo, exec_lo, s7
	s_cbranch_execnz .LBB6_2530
.LBB6_2531:
	s_or_b32 exec_lo, exec_lo, s6
	v_mov_b32_e32 v3, 0
	s_mov_b32 s7, exec_lo
	s_mov_b32 s6, exec_lo
	v_mbcnt_lo_u32_b32 v2, s7, 0
	global_load_b64 v[0:1], v3, s[2:3] offset:16
	v_cmpx_eq_u32_e32 0, v2
	s_cbranch_execz .LBB6_2533
; %bb.2532:
	s_bcnt1_i32_b32 s7, s7
	s_delay_alu instid0(SALU_CYCLE_1)
	v_mov_b32_e32 v2, s7
	s_waitcnt vmcnt(0)
	global_atomic_add_u64 v[0:1], v[2:3], off offset:8
.LBB6_2533:
	s_or_b32 exec_lo, exec_lo, s6
	s_waitcnt vmcnt(0)
	global_load_b64 v[2:3], v[0:1], off offset:16
	s_waitcnt vmcnt(0)
	v_cmp_eq_u64_e32 vcc_lo, 0, v[2:3]
	s_cbranch_vccnz .LBB6_2535
; %bb.2534:
	global_load_b32 v0, v[0:1], off offset:24
	s_waitcnt vmcnt(0)
	v_dual_mov_b32 v1, 0 :: v_dual_and_b32 v4, 0xffffff, v0
	s_waitcnt_vscnt null, 0x0
	global_store_b64 v[2:3], v[0:1], off
	v_readfirstlane_b32 m0, v4
	s_sendmsg sendmsg(MSG_INTERRUPT)
.LBB6_2535:
	s_or_b32 exec_lo, exec_lo, s1
	s_branch .LBB6_2537
.LBB6_2536:
	s_branch .LBB6_2541
.LBB6_2537:                             ; =>This Inner Loop Header: Depth=1
	v_mov_b32_e32 v0, 1
	s_and_saveexec_b32 s1, s0
	s_cbranch_execz .LBB6_2539
; %bb.2538:                             ;   in Loop: Header=BB6_2537 Depth=1
	global_load_b32 v0, v[8:9], off offset:20 glc
	s_waitcnt vmcnt(0)
	buffer_gl1_inv
	buffer_gl0_inv
	v_and_b32_e32 v0, 1, v0
.LBB6_2539:                             ;   in Loop: Header=BB6_2537 Depth=1
	s_or_b32 exec_lo, exec_lo, s1
	s_delay_alu instid0(VALU_DEP_1) | instskip(NEXT) | instid1(VALU_DEP_1)
	v_readfirstlane_b32 s1, v0
	s_cmp_eq_u32 s1, 0
	s_cbranch_scc1 .LBB6_2536
; %bb.2540:                             ;   in Loop: Header=BB6_2537 Depth=1
	s_sleep 1
	s_cbranch_execnz .LBB6_2537
.LBB6_2541:
	s_and_saveexec_b32 s1, s0
	s_cbranch_execz .LBB6_2545
; %bb.2542:
	v_mov_b32_e32 v6, 0
	s_clause 0x2
	global_load_b64 v[2:3], v6, s[2:3] offset:40
	global_load_b64 v[7:8], v6, s[2:3] offset:24 glc
	global_load_b64 v[4:5], v6, s[2:3]
	s_waitcnt vmcnt(2)
	v_add_co_u32 v9, vcc_lo, v2, 1
	v_add_co_ci_u32_e32 v10, vcc_lo, 0, v3, vcc_lo
	s_delay_alu instid0(VALU_DEP_2) | instskip(NEXT) | instid1(VALU_DEP_2)
	v_add_co_u32 v0, vcc_lo, v9, s4
	v_add_co_ci_u32_e32 v1, vcc_lo, s5, v10, vcc_lo
	s_delay_alu instid0(VALU_DEP_1) | instskip(SKIP_1) | instid1(VALU_DEP_1)
	v_cmp_eq_u64_e32 vcc_lo, 0, v[0:1]
	v_dual_cndmask_b32 v1, v1, v10 :: v_dual_cndmask_b32 v0, v0, v9
	v_and_b32_e32 v3, v1, v3
	s_delay_alu instid0(VALU_DEP_2) | instskip(NEXT) | instid1(VALU_DEP_2)
	v_and_b32_e32 v2, v0, v2
	v_mul_lo_u32 v3, v3, 24
	s_delay_alu instid0(VALU_DEP_2) | instskip(SKIP_1) | instid1(VALU_DEP_2)
	v_mul_hi_u32 v9, v2, 24
	v_mul_lo_u32 v2, v2, 24
	v_add_nc_u32_e32 v3, v9, v3
	s_waitcnt vmcnt(0)
	s_delay_alu instid0(VALU_DEP_2) | instskip(SKIP_1) | instid1(VALU_DEP_3)
	v_add_co_u32 v4, vcc_lo, v4, v2
	v_mov_b32_e32 v2, v7
	v_add_co_ci_u32_e32 v5, vcc_lo, v5, v3, vcc_lo
	v_mov_b32_e32 v3, v8
	global_store_b64 v[4:5], v[7:8], off
	s_waitcnt_vscnt null, 0x0
	global_atomic_cmpswap_b64 v[2:3], v6, v[0:3], s[2:3] offset:24 glc
	s_waitcnt vmcnt(0)
	v_cmp_ne_u64_e32 vcc_lo, v[2:3], v[7:8]
	s_and_b32 exec_lo, exec_lo, vcc_lo
	s_cbranch_execz .LBB6_2545
; %bb.2543:
	s_mov_b32 s0, 0
.LBB6_2544:                             ; =>This Inner Loop Header: Depth=1
	s_sleep 1
	global_store_b64 v[4:5], v[2:3], off
	s_waitcnt_vscnt null, 0x0
	global_atomic_cmpswap_b64 v[7:8], v6, v[0:3], s[2:3] offset:24 glc
	s_waitcnt vmcnt(0)
	v_cmp_eq_u64_e32 vcc_lo, v[7:8], v[2:3]
	v_dual_mov_b32 v2, v7 :: v_dual_mov_b32 v3, v8
	s_or_b32 s0, vcc_lo, s0
	s_delay_alu instid0(SALU_CYCLE_1)
	s_and_not1_b32 exec_lo, exec_lo, s0
	s_cbranch_execnz .LBB6_2544
.LBB6_2545:
	s_or_b32 exec_lo, exec_lo, s1
.LBB6_2546:
	s_getpc_b64 s[0:1]
	s_add_u32 s0, s0, .str.29@rel32@lo+4
	s_addc_u32 s1, s1, .str.29@rel32@hi+12
	s_getpc_b64 s[2:3]
	s_add_u32 s2, s2, .str.19@rel32@lo+4
	s_addc_u32 s3, s3, .str.19@rel32@hi+12
	s_getpc_b64 s[4:5]
	s_add_u32 s4, s4, __PRETTY_FUNCTION__._ZN7VecsMemIjLi8192EE5fetchEi@rel32@lo+4
	s_addc_u32 s5, s5, __PRETTY_FUNCTION__._ZN7VecsMemIjLi8192EE5fetchEi@rel32@hi+12
	s_waitcnt vmcnt(0)
	v_dual_mov_b32 v0, s0 :: v_dual_mov_b32 v1, s1
	v_dual_mov_b32 v2, s2 :: v_dual_mov_b32 v3, s3
	;; [unrolled: 1-line block ×3, first 2 shown]
	v_mov_b32_e32 v6, s5
	s_mov_b64 s[8:9], s[44:45]
	s_getpc_b64 s[6:7]
	s_add_u32 s6, s6, __assert_fail@rel32@lo+4
	s_addc_u32 s7, s7, __assert_fail@rel32@hi+12
	s_delay_alu instid0(SALU_CYCLE_1)
	s_swappc_b64 s[30:31], s[6:7]
	s_or_b32 s18, s18, exec_lo
                                        ; implicit-def: $vgpr40
.LBB6_2547:
	s_or_b32 exec_lo, exec_lo, s19
	v_readlane_b32 s0, v56, 29
	s_and_b32 s1, s18, exec_lo
	s_and_b32 s17, s17, exec_lo
	s_delay_alu instid0(VALU_DEP_1) | instskip(NEXT) | instid1(SALU_CYCLE_1)
	s_and_not1_b32 s0, s0, exec_lo
	s_or_b32 s18, s0, s1
.LBB6_2548:
	s_and_not1_saveexec_b32 s19, s41
	s_cbranch_execz .LBB6_2690
; %bb.2549:
	s_load_b64 s[2:3], s[44:45], 0x50
	v_mbcnt_lo_u32_b32 v29, -1, 0
	v_mov_b32_e32 v6, 0
	v_mov_b32_e32 v7, 0
	s_delay_alu instid0(VALU_DEP_3) | instskip(NEXT) | instid1(VALU_DEP_1)
	v_readfirstlane_b32 s0, v29
	v_cmp_eq_u32_e64 s0, s0, v29
	s_delay_alu instid0(VALU_DEP_1)
	s_and_saveexec_b32 s1, s0
	s_cbranch_execz .LBB6_2555
; %bb.2550:
	v_mov_b32_e32 v0, 0
	s_mov_b32 s4, exec_lo
	s_waitcnt lgkmcnt(0)
	global_load_b64 v[3:4], v0, s[2:3] offset:24 glc
	s_waitcnt vmcnt(0)
	buffer_gl1_inv
	buffer_gl0_inv
	s_clause 0x1
	global_load_b64 v[1:2], v0, s[2:3] offset:40
	global_load_b64 v[5:6], v0, s[2:3]
	s_waitcnt vmcnt(1)
	v_and_b32_e32 v1, v1, v3
	v_and_b32_e32 v2, v2, v4
	s_delay_alu instid0(VALU_DEP_2) | instskip(NEXT) | instid1(VALU_DEP_2)
	v_mul_hi_u32 v7, v1, 24
	v_mul_lo_u32 v2, v2, 24
	v_mul_lo_u32 v1, v1, 24
	s_delay_alu instid0(VALU_DEP_2) | instskip(SKIP_1) | instid1(VALU_DEP_2)
	v_add_nc_u32_e32 v2, v7, v2
	s_waitcnt vmcnt(0)
	v_add_co_u32 v1, vcc_lo, v5, v1
	s_delay_alu instid0(VALU_DEP_2)
	v_add_co_ci_u32_e32 v2, vcc_lo, v6, v2, vcc_lo
	global_load_b64 v[1:2], v[1:2], off glc
	s_waitcnt vmcnt(0)
	global_atomic_cmpswap_b64 v[6:7], v0, v[1:4], s[2:3] offset:24 glc
	s_waitcnt vmcnt(0)
	buffer_gl1_inv
	buffer_gl0_inv
	v_cmpx_ne_u64_e64 v[6:7], v[3:4]
	s_cbranch_execz .LBB6_2554
; %bb.2551:
	s_mov_b32 s5, 0
.LBB6_2552:                             ; =>This Inner Loop Header: Depth=1
	s_sleep 1
	s_clause 0x1
	global_load_b64 v[1:2], v0, s[2:3] offset:40
	global_load_b64 v[8:9], v0, s[2:3]
	v_dual_mov_b32 v3, v6 :: v_dual_mov_b32 v4, v7
	s_waitcnt vmcnt(1)
	s_delay_alu instid0(VALU_DEP_1) | instskip(NEXT) | instid1(VALU_DEP_2)
	v_and_b32_e32 v1, v1, v3
	v_and_b32_e32 v2, v2, v4
	s_waitcnt vmcnt(0)
	s_delay_alu instid0(VALU_DEP_2) | instskip(NEXT) | instid1(VALU_DEP_1)
	v_mad_u64_u32 v[5:6], null, v1, 24, v[8:9]
	v_mov_b32_e32 v1, v6
	s_delay_alu instid0(VALU_DEP_1)
	v_mad_u64_u32 v[6:7], null, v2, 24, v[1:2]
	global_load_b64 v[1:2], v[5:6], off glc
	s_waitcnt vmcnt(0)
	global_atomic_cmpswap_b64 v[6:7], v0, v[1:4], s[2:3] offset:24 glc
	s_waitcnt vmcnt(0)
	buffer_gl1_inv
	buffer_gl0_inv
	v_cmp_eq_u64_e32 vcc_lo, v[6:7], v[3:4]
	s_or_b32 s5, vcc_lo, s5
	s_delay_alu instid0(SALU_CYCLE_1)
	s_and_not1_b32 exec_lo, exec_lo, s5
	s_cbranch_execnz .LBB6_2552
; %bb.2553:
	s_or_b32 exec_lo, exec_lo, s5
.LBB6_2554:
	s_delay_alu instid0(SALU_CYCLE_1)
	s_or_b32 exec_lo, exec_lo, s4
.LBB6_2555:
	s_delay_alu instid0(SALU_CYCLE_1)
	s_or_b32 exec_lo, exec_lo, s1
	v_mov_b32_e32 v5, 0
	v_readfirstlane_b32 s4, v6
	v_readfirstlane_b32 s5, v7
	s_mov_b32 s1, exec_lo
	s_waitcnt lgkmcnt(0)
	s_clause 0x1
	global_load_b64 v[8:9], v5, s[2:3] offset:40
	global_load_b128 v[0:3], v5, s[2:3]
	s_waitcnt vmcnt(1)
	v_readfirstlane_b32 s6, v8
	v_readfirstlane_b32 s7, v9
	s_delay_alu instid0(VALU_DEP_1) | instskip(NEXT) | instid1(SALU_CYCLE_1)
	s_and_b64 s[6:7], s[4:5], s[6:7]
	s_mul_i32 s8, s7, 24
	s_mul_hi_u32 s9, s6, 24
	s_mul_i32 s10, s6, 24
	s_add_i32 s9, s9, s8
	s_waitcnt vmcnt(0)
	v_add_co_u32 v8, vcc_lo, v0, s10
	v_add_co_ci_u32_e32 v9, vcc_lo, s9, v1, vcc_lo
	s_and_saveexec_b32 s8, s0
	s_cbranch_execz .LBB6_2557
; %bb.2556:
	v_dual_mov_b32 v4, s1 :: v_dual_mov_b32 v7, 1
	v_mov_b32_e32 v6, 2
	global_store_b128 v[8:9], v[4:7], off offset:8
.LBB6_2557:
	s_or_b32 exec_lo, exec_lo, s8
	s_lshl_b64 s[6:7], s[6:7], 12
	v_dual_mov_b32 v7, v5 :: v_dual_lshlrev_b32 v28, 6, v29
	v_add_co_u32 v2, vcc_lo, v2, s6
	v_add_co_ci_u32_e32 v3, vcc_lo, s7, v3, vcc_lo
	s_mov_b32 s8, 0
	s_delay_alu instid0(VALU_DEP_2)
	v_add_co_u32 v10, vcc_lo, v2, v28
	s_mov_b32 s11, s8
	s_mov_b32 s9, s8
	;; [unrolled: 1-line block ×3, first 2 shown]
	v_dual_mov_b32 v4, 33 :: v_dual_mov_b32 v15, s11
	v_dual_mov_b32 v6, v5 :: v_dual_mov_b32 v13, s9
	v_readfirstlane_b32 s6, v2
	v_readfirstlane_b32 s7, v3
	v_add_co_ci_u32_e32 v11, vcc_lo, 0, v3, vcc_lo
	v_mov_b32_e32 v14, s10
	v_mov_b32_e32 v12, s8
	s_clause 0x3
	global_store_b128 v28, v[4:7], s[6:7]
	global_store_b128 v28, v[12:15], s[6:7] offset:16
	global_store_b128 v28, v[12:15], s[6:7] offset:32
	global_store_b128 v28, v[12:15], s[6:7] offset:48
	s_and_saveexec_b32 s1, s0
	s_cbranch_execz .LBB6_2565
; %bb.2558:
	v_mov_b32_e32 v6, 0
	s_mov_b32 s6, exec_lo
	s_clause 0x1
	global_load_b64 v[14:15], v6, s[2:3] offset:32 glc
	global_load_b64 v[2:3], v6, s[2:3] offset:40
	v_dual_mov_b32 v13, s5 :: v_dual_mov_b32 v12, s4
	s_waitcnt vmcnt(0)
	v_and_b32_e32 v3, s5, v3
	v_and_b32_e32 v2, s4, v2
	s_delay_alu instid0(VALU_DEP_2) | instskip(NEXT) | instid1(VALU_DEP_2)
	v_mul_lo_u32 v3, v3, 24
	v_mul_hi_u32 v4, v2, 24
	v_mul_lo_u32 v2, v2, 24
	s_delay_alu instid0(VALU_DEP_2) | instskip(NEXT) | instid1(VALU_DEP_2)
	v_add_nc_u32_e32 v3, v4, v3
	v_add_co_u32 v4, vcc_lo, v0, v2
	s_delay_alu instid0(VALU_DEP_2)
	v_add_co_ci_u32_e32 v5, vcc_lo, v1, v3, vcc_lo
	global_store_b64 v[4:5], v[14:15], off
	s_waitcnt_vscnt null, 0x0
	global_atomic_cmpswap_b64 v[2:3], v6, v[12:15], s[2:3] offset:32 glc
	s_waitcnt vmcnt(0)
	v_cmpx_ne_u64_e64 v[2:3], v[14:15]
	s_cbranch_execz .LBB6_2561
; %bb.2559:
	s_mov_b32 s7, 0
.LBB6_2560:                             ; =>This Inner Loop Header: Depth=1
	v_dual_mov_b32 v0, s4 :: v_dual_mov_b32 v1, s5
	s_sleep 1
	global_store_b64 v[4:5], v[2:3], off
	s_waitcnt_vscnt null, 0x0
	global_atomic_cmpswap_b64 v[0:1], v6, v[0:3], s[2:3] offset:32 glc
	s_waitcnt vmcnt(0)
	v_cmp_eq_u64_e32 vcc_lo, v[0:1], v[2:3]
	v_dual_mov_b32 v3, v1 :: v_dual_mov_b32 v2, v0
	s_or_b32 s7, vcc_lo, s7
	s_delay_alu instid0(SALU_CYCLE_1)
	s_and_not1_b32 exec_lo, exec_lo, s7
	s_cbranch_execnz .LBB6_2560
.LBB6_2561:
	s_or_b32 exec_lo, exec_lo, s6
	v_mov_b32_e32 v3, 0
	s_mov_b32 s7, exec_lo
	s_mov_b32 s6, exec_lo
	v_mbcnt_lo_u32_b32 v2, s7, 0
	global_load_b64 v[0:1], v3, s[2:3] offset:16
	v_cmpx_eq_u32_e32 0, v2
	s_cbranch_execz .LBB6_2563
; %bb.2562:
	s_bcnt1_i32_b32 s7, s7
	s_delay_alu instid0(SALU_CYCLE_1)
	v_mov_b32_e32 v2, s7
	s_waitcnt vmcnt(0)
	global_atomic_add_u64 v[0:1], v[2:3], off offset:8
.LBB6_2563:
	s_or_b32 exec_lo, exec_lo, s6
	s_waitcnt vmcnt(0)
	global_load_b64 v[2:3], v[0:1], off offset:16
	s_waitcnt vmcnt(0)
	v_cmp_eq_u64_e32 vcc_lo, 0, v[2:3]
	s_cbranch_vccnz .LBB6_2565
; %bb.2564:
	global_load_b32 v0, v[0:1], off offset:24
	s_waitcnt vmcnt(0)
	v_dual_mov_b32 v1, 0 :: v_dual_and_b32 v4, 0xffffff, v0
	s_waitcnt_vscnt null, 0x0
	global_store_b64 v[2:3], v[0:1], off
	v_readfirstlane_b32 m0, v4
	s_sendmsg sendmsg(MSG_INTERRUPT)
.LBB6_2565:
	s_or_b32 exec_lo, exec_lo, s1
	s_branch .LBB6_2567
.LBB6_2566:
	s_branch .LBB6_2571
.LBB6_2567:                             ; =>This Inner Loop Header: Depth=1
	v_mov_b32_e32 v0, 1
	s_and_saveexec_b32 s1, s0
	s_cbranch_execz .LBB6_2569
; %bb.2568:                             ;   in Loop: Header=BB6_2567 Depth=1
	global_load_b32 v0, v[8:9], off offset:20 glc
	s_waitcnt vmcnt(0)
	buffer_gl1_inv
	buffer_gl0_inv
	v_and_b32_e32 v0, 1, v0
.LBB6_2569:                             ;   in Loop: Header=BB6_2567 Depth=1
	s_or_b32 exec_lo, exec_lo, s1
	s_delay_alu instid0(VALU_DEP_1) | instskip(NEXT) | instid1(VALU_DEP_1)
	v_readfirstlane_b32 s1, v0
	s_cmp_eq_u32 s1, 0
	s_cbranch_scc1 .LBB6_2566
; %bb.2570:                             ;   in Loop: Header=BB6_2567 Depth=1
	s_sleep 1
	s_cbranch_execnz .LBB6_2567
.LBB6_2571:
	global_load_b64 v[0:1], v[10:11], off
	s_and_saveexec_b32 s1, s0
	s_cbranch_execz .LBB6_2575
; %bb.2572:
	v_mov_b32_e32 v8, 0
	s_clause 0x2
	global_load_b64 v[4:5], v8, s[2:3] offset:40
	global_load_b64 v[9:10], v8, s[2:3] offset:24 glc
	global_load_b64 v[6:7], v8, s[2:3]
	s_waitcnt vmcnt(2)
	v_add_co_u32 v11, vcc_lo, v4, 1
	v_add_co_ci_u32_e32 v12, vcc_lo, 0, v5, vcc_lo
	s_delay_alu instid0(VALU_DEP_2) | instskip(NEXT) | instid1(VALU_DEP_2)
	v_add_co_u32 v2, vcc_lo, v11, s4
	v_add_co_ci_u32_e32 v3, vcc_lo, s5, v12, vcc_lo
	s_delay_alu instid0(VALU_DEP_1) | instskip(SKIP_1) | instid1(VALU_DEP_1)
	v_cmp_eq_u64_e32 vcc_lo, 0, v[2:3]
	v_dual_cndmask_b32 v3, v3, v12 :: v_dual_cndmask_b32 v2, v2, v11
	v_and_b32_e32 v5, v3, v5
	s_delay_alu instid0(VALU_DEP_2) | instskip(NEXT) | instid1(VALU_DEP_2)
	v_and_b32_e32 v4, v2, v4
	v_mul_lo_u32 v5, v5, 24
	s_delay_alu instid0(VALU_DEP_2) | instskip(SKIP_1) | instid1(VALU_DEP_2)
	v_mul_hi_u32 v11, v4, 24
	v_mul_lo_u32 v4, v4, 24
	v_add_nc_u32_e32 v5, v11, v5
	s_waitcnt vmcnt(0)
	s_delay_alu instid0(VALU_DEP_2) | instskip(SKIP_1) | instid1(VALU_DEP_3)
	v_add_co_u32 v6, vcc_lo, v6, v4
	v_mov_b32_e32 v4, v9
	v_add_co_ci_u32_e32 v7, vcc_lo, v7, v5, vcc_lo
	v_mov_b32_e32 v5, v10
	global_store_b64 v[6:7], v[9:10], off
	s_waitcnt_vscnt null, 0x0
	global_atomic_cmpswap_b64 v[4:5], v8, v[2:5], s[2:3] offset:24 glc
	s_waitcnt vmcnt(0)
	v_cmp_ne_u64_e32 vcc_lo, v[4:5], v[9:10]
	s_and_b32 exec_lo, exec_lo, vcc_lo
	s_cbranch_execz .LBB6_2575
; %bb.2573:
	s_mov_b32 s0, 0
.LBB6_2574:                             ; =>This Inner Loop Header: Depth=1
	s_sleep 1
	global_store_b64 v[6:7], v[4:5], off
	s_waitcnt_vscnt null, 0x0
	global_atomic_cmpswap_b64 v[9:10], v8, v[2:5], s[2:3] offset:24 glc
	s_waitcnt vmcnt(0)
	v_cmp_eq_u64_e32 vcc_lo, v[9:10], v[4:5]
	v_dual_mov_b32 v4, v9 :: v_dual_mov_b32 v5, v10
	s_or_b32 s0, vcc_lo, s0
	s_delay_alu instid0(SALU_CYCLE_1)
	s_and_not1_b32 exec_lo, exec_lo, s0
	s_cbranch_execnz .LBB6_2574
.LBB6_2575:
	s_or_b32 exec_lo, exec_lo, s1
	s_getpc_b64 s[4:5]
	s_add_u32 s4, s4, .str.28@rel32@lo+4
	s_addc_u32 s5, s5, .str.28@rel32@hi+12
	s_delay_alu instid0(SALU_CYCLE_1)
	s_cmp_lg_u64 s[4:5], 0
	s_cbranch_scc0 .LBB6_2660
; %bb.2576:
	s_waitcnt vmcnt(0)
	v_dual_mov_b32 v7, v1 :: v_dual_and_b32 v6, -3, v0
	v_dual_mov_b32 v3, 0 :: v_dual_mov_b32 v4, 2
	v_mov_b32_e32 v5, 1
	s_mov_b64 s[6:7], 35
	s_branch .LBB6_2578
.LBB6_2577:                             ;   in Loop: Header=BB6_2578 Depth=1
	s_or_b32 exec_lo, exec_lo, s1
	s_sub_u32 s6, s6, s8
	s_subb_u32 s7, s7, s9
	s_add_u32 s4, s4, s8
	s_addc_u32 s5, s5, s9
	s_cmp_lg_u64 s[6:7], 0
	s_cbranch_scc0 .LBB6_2659
.LBB6_2578:                             ; =>This Loop Header: Depth=1
                                        ;     Child Loop BB6_2581 Depth 2
                                        ;     Child Loop BB6_2586 Depth 2
	;; [unrolled: 1-line block ×11, first 2 shown]
	v_cmp_lt_u64_e64 s0, s[6:7], 56
	v_cmp_gt_u64_e64 s1, s[6:7], 7
                                        ; implicit-def: $sgpr14
	s_delay_alu instid0(VALU_DEP_2) | instskip(SKIP_2) | instid1(VALU_DEP_1)
	s_and_b32 s0, s0, exec_lo
	s_cselect_b32 s9, s7, 0
	s_cselect_b32 s8, s6, 56
	s_and_b32 vcc_lo, exec_lo, s1
	s_mov_b32 s0, -1
	s_cbranch_vccnz .LBB6_2588
; %bb.2579:                             ;   in Loop: Header=BB6_2578 Depth=1
	s_waitcnt vmcnt(0)
	v_mov_b32_e32 v8, 0
	v_mov_b32_e32 v9, 0
	s_cmp_eq_u64 s[6:7], 0
	s_mov_b64 s[0:1], 0
	s_cbranch_scc1 .LBB6_2582
; %bb.2580:                             ;   in Loop: Header=BB6_2578 Depth=1
	v_mov_b32_e32 v8, 0
	v_mov_b32_e32 v9, 0
	s_lshl_b64 s[10:11], s[8:9], 3
	s_mov_b64 s[12:13], s[4:5]
.LBB6_2581:                             ;   Parent Loop BB6_2578 Depth=1
                                        ; =>  This Inner Loop Header: Depth=2
	global_load_u8 v2, v3, s[12:13]
	s_waitcnt vmcnt(0)
	v_and_b32_e32 v2, 0xffff, v2
	s_delay_alu instid0(VALU_DEP_1)
	v_lshlrev_b64 v[10:11], s0, v[2:3]
	s_add_u32 s0, s0, 8
	s_addc_u32 s1, s1, 0
	s_add_u32 s12, s12, 1
	s_addc_u32 s13, s13, 0
	s_cmp_lg_u32 s10, s0
	v_or_b32_e32 v8, v10, v8
	v_or_b32_e32 v9, v11, v9
	s_cbranch_scc1 .LBB6_2581
.LBB6_2582:                             ;   in Loop: Header=BB6_2578 Depth=1
	s_mov_b32 s14, 0
	s_mov_b64 s[0:1], s[4:5]
	s_cbranch_execz .LBB6_2589
.LBB6_2583:                             ;   in Loop: Header=BB6_2578 Depth=1
	s_cmp_gt_u32 s14, 7
	s_cbranch_scc1 .LBB6_2590
.LBB6_2584:                             ;   in Loop: Header=BB6_2578 Depth=1
	v_mov_b32_e32 v10, 0
	v_mov_b32_e32 v11, 0
	s_cmp_eq_u32 s14, 0
	s_cbranch_scc1 .LBB6_2587
; %bb.2585:                             ;   in Loop: Header=BB6_2578 Depth=1
	s_mov_b64 s[10:11], 0
	s_mov_b64 s[12:13], 0
.LBB6_2586:                             ;   Parent Loop BB6_2578 Depth=1
                                        ; =>  This Inner Loop Header: Depth=2
	s_delay_alu instid0(SALU_CYCLE_1)
	s_add_u32 s20, s0, s12
	s_addc_u32 s21, s1, s13
	s_add_u32 s12, s12, 1
	global_load_u8 v2, v3, s[20:21]
	s_addc_u32 s13, s13, 0
	s_waitcnt vmcnt(0)
	v_and_b32_e32 v2, 0xffff, v2
	s_delay_alu instid0(VALU_DEP_1) | instskip(SKIP_3) | instid1(VALU_DEP_1)
	v_lshlrev_b64 v[12:13], s10, v[2:3]
	s_add_u32 s10, s10, 8
	s_addc_u32 s11, s11, 0
	s_cmp_lg_u32 s14, s12
	v_or_b32_e32 v10, v12, v10
	s_delay_alu instid0(VALU_DEP_2)
	v_or_b32_e32 v11, v13, v11
	s_cbranch_scc1 .LBB6_2586
.LBB6_2587:                             ;   in Loop: Header=BB6_2578 Depth=1
	s_mov_b32 s10, 0
	s_mov_b32 s15, 0
	s_branch .LBB6_2591
.LBB6_2588:                             ;   in Loop: Header=BB6_2578 Depth=1
	s_and_not1_b32 vcc_lo, exec_lo, s0
	s_mov_b64 s[0:1], s[4:5]
	s_cbranch_vccnz .LBB6_2583
.LBB6_2589:                             ;   in Loop: Header=BB6_2578 Depth=1
	global_load_b64 v[8:9], v3, s[4:5]
	s_add_i32 s14, s8, -8
	s_add_u32 s0, s4, 8
	s_addc_u32 s1, s5, 0
	s_cmp_gt_u32 s14, 7
	s_cbranch_scc0 .LBB6_2584
.LBB6_2590:                             ;   in Loop: Header=BB6_2578 Depth=1
	s_mov_b32 s10, -1
                                        ; implicit-def: $vgpr10_vgpr11
                                        ; implicit-def: $sgpr15
.LBB6_2591:                             ;   in Loop: Header=BB6_2578 Depth=1
	s_delay_alu instid0(SALU_CYCLE_1)
	s_and_not1_b32 vcc_lo, exec_lo, s10
	s_cbranch_vccnz .LBB6_2593
; %bb.2592:                             ;   in Loop: Header=BB6_2578 Depth=1
	global_load_b64 v[10:11], v3, s[0:1]
	s_add_i32 s15, s14, -8
	s_add_u32 s0, s0, 8
	s_addc_u32 s1, s1, 0
.LBB6_2593:                             ;   in Loop: Header=BB6_2578 Depth=1
	s_cmp_gt_u32 s15, 7
	s_cbranch_scc1 .LBB6_2598
; %bb.2594:                             ;   in Loop: Header=BB6_2578 Depth=1
	v_mov_b32_e32 v12, 0
	v_mov_b32_e32 v13, 0
	s_cmp_eq_u32 s15, 0
	s_cbranch_scc1 .LBB6_2597
; %bb.2595:                             ;   in Loop: Header=BB6_2578 Depth=1
	s_mov_b64 s[10:11], 0
	s_mov_b64 s[12:13], 0
.LBB6_2596:                             ;   Parent Loop BB6_2578 Depth=1
                                        ; =>  This Inner Loop Header: Depth=2
	s_delay_alu instid0(SALU_CYCLE_1)
	s_add_u32 s20, s0, s12
	s_addc_u32 s21, s1, s13
	s_add_u32 s12, s12, 1
	global_load_u8 v2, v3, s[20:21]
	s_addc_u32 s13, s13, 0
	s_waitcnt vmcnt(0)
	v_and_b32_e32 v2, 0xffff, v2
	s_delay_alu instid0(VALU_DEP_1) | instskip(SKIP_3) | instid1(VALU_DEP_1)
	v_lshlrev_b64 v[14:15], s10, v[2:3]
	s_add_u32 s10, s10, 8
	s_addc_u32 s11, s11, 0
	s_cmp_lg_u32 s15, s12
	v_or_b32_e32 v12, v14, v12
	s_delay_alu instid0(VALU_DEP_2)
	v_or_b32_e32 v13, v15, v13
	s_cbranch_scc1 .LBB6_2596
.LBB6_2597:                             ;   in Loop: Header=BB6_2578 Depth=1
	s_mov_b32 s10, 0
	s_mov_b32 s14, 0
	s_branch .LBB6_2599
.LBB6_2598:                             ;   in Loop: Header=BB6_2578 Depth=1
	s_mov_b32 s10, -1
                                        ; implicit-def: $sgpr14
.LBB6_2599:                             ;   in Loop: Header=BB6_2578 Depth=1
	s_delay_alu instid0(SALU_CYCLE_1)
	s_and_not1_b32 vcc_lo, exec_lo, s10
	s_cbranch_vccnz .LBB6_2601
; %bb.2600:                             ;   in Loop: Header=BB6_2578 Depth=1
	global_load_b64 v[12:13], v3, s[0:1]
	s_add_i32 s14, s15, -8
	s_add_u32 s0, s0, 8
	s_addc_u32 s1, s1, 0
.LBB6_2601:                             ;   in Loop: Header=BB6_2578 Depth=1
	s_cmp_gt_u32 s14, 7
	s_cbranch_scc1 .LBB6_2606
; %bb.2602:                             ;   in Loop: Header=BB6_2578 Depth=1
	v_mov_b32_e32 v14, 0
	v_mov_b32_e32 v15, 0
	s_cmp_eq_u32 s14, 0
	s_cbranch_scc1 .LBB6_2605
; %bb.2603:                             ;   in Loop: Header=BB6_2578 Depth=1
	s_mov_b64 s[10:11], 0
	s_mov_b64 s[12:13], 0
.LBB6_2604:                             ;   Parent Loop BB6_2578 Depth=1
                                        ; =>  This Inner Loop Header: Depth=2
	s_delay_alu instid0(SALU_CYCLE_1)
	s_add_u32 s20, s0, s12
	s_addc_u32 s21, s1, s13
	s_add_u32 s12, s12, 1
	global_load_u8 v2, v3, s[20:21]
	s_addc_u32 s13, s13, 0
	s_waitcnt vmcnt(0)
	v_and_b32_e32 v2, 0xffff, v2
	s_delay_alu instid0(VALU_DEP_1) | instskip(SKIP_3) | instid1(VALU_DEP_1)
	v_lshlrev_b64 v[16:17], s10, v[2:3]
	s_add_u32 s10, s10, 8
	s_addc_u32 s11, s11, 0
	s_cmp_lg_u32 s14, s12
	v_or_b32_e32 v14, v16, v14
	s_delay_alu instid0(VALU_DEP_2)
	v_or_b32_e32 v15, v17, v15
	s_cbranch_scc1 .LBB6_2604
.LBB6_2605:                             ;   in Loop: Header=BB6_2578 Depth=1
	s_mov_b32 s10, 0
	s_mov_b32 s15, 0
	s_branch .LBB6_2607
.LBB6_2606:                             ;   in Loop: Header=BB6_2578 Depth=1
	s_mov_b32 s10, -1
                                        ; implicit-def: $vgpr14_vgpr15
                                        ; implicit-def: $sgpr15
.LBB6_2607:                             ;   in Loop: Header=BB6_2578 Depth=1
	s_delay_alu instid0(SALU_CYCLE_1)
	s_and_not1_b32 vcc_lo, exec_lo, s10
	s_cbranch_vccnz .LBB6_2609
; %bb.2608:                             ;   in Loop: Header=BB6_2578 Depth=1
	global_load_b64 v[14:15], v3, s[0:1]
	s_add_i32 s15, s14, -8
	s_add_u32 s0, s0, 8
	s_addc_u32 s1, s1, 0
.LBB6_2609:                             ;   in Loop: Header=BB6_2578 Depth=1
	s_cmp_gt_u32 s15, 7
	s_cbranch_scc1 .LBB6_2614
; %bb.2610:                             ;   in Loop: Header=BB6_2578 Depth=1
	v_mov_b32_e32 v16, 0
	v_mov_b32_e32 v17, 0
	s_cmp_eq_u32 s15, 0
	s_cbranch_scc1 .LBB6_2613
; %bb.2611:                             ;   in Loop: Header=BB6_2578 Depth=1
	s_mov_b64 s[10:11], 0
	s_mov_b64 s[12:13], 0
.LBB6_2612:                             ;   Parent Loop BB6_2578 Depth=1
                                        ; =>  This Inner Loop Header: Depth=2
	s_delay_alu instid0(SALU_CYCLE_1)
	s_add_u32 s20, s0, s12
	s_addc_u32 s21, s1, s13
	s_add_u32 s12, s12, 1
	global_load_u8 v2, v3, s[20:21]
	s_addc_u32 s13, s13, 0
	s_waitcnt vmcnt(0)
	v_and_b32_e32 v2, 0xffff, v2
	s_delay_alu instid0(VALU_DEP_1) | instskip(SKIP_3) | instid1(VALU_DEP_1)
	v_lshlrev_b64 v[18:19], s10, v[2:3]
	s_add_u32 s10, s10, 8
	s_addc_u32 s11, s11, 0
	s_cmp_lg_u32 s15, s12
	v_or_b32_e32 v16, v18, v16
	s_delay_alu instid0(VALU_DEP_2)
	v_or_b32_e32 v17, v19, v17
	s_cbranch_scc1 .LBB6_2612
.LBB6_2613:                             ;   in Loop: Header=BB6_2578 Depth=1
	s_mov_b32 s10, 0
	s_mov_b32 s14, 0
	s_branch .LBB6_2615
.LBB6_2614:                             ;   in Loop: Header=BB6_2578 Depth=1
	s_mov_b32 s10, -1
                                        ; implicit-def: $sgpr14
.LBB6_2615:                             ;   in Loop: Header=BB6_2578 Depth=1
	s_delay_alu instid0(SALU_CYCLE_1)
	s_and_not1_b32 vcc_lo, exec_lo, s10
	s_cbranch_vccnz .LBB6_2617
; %bb.2616:                             ;   in Loop: Header=BB6_2578 Depth=1
	global_load_b64 v[16:17], v3, s[0:1]
	s_add_i32 s14, s15, -8
	s_add_u32 s0, s0, 8
	s_addc_u32 s1, s1, 0
.LBB6_2617:                             ;   in Loop: Header=BB6_2578 Depth=1
	s_cmp_gt_u32 s14, 7
	s_cbranch_scc1 .LBB6_2622
; %bb.2618:                             ;   in Loop: Header=BB6_2578 Depth=1
	v_mov_b32_e32 v18, 0
	v_mov_b32_e32 v19, 0
	s_cmp_eq_u32 s14, 0
	s_cbranch_scc1 .LBB6_2621
; %bb.2619:                             ;   in Loop: Header=BB6_2578 Depth=1
	s_mov_b64 s[10:11], 0
	s_mov_b64 s[12:13], 0
.LBB6_2620:                             ;   Parent Loop BB6_2578 Depth=1
                                        ; =>  This Inner Loop Header: Depth=2
	s_delay_alu instid0(SALU_CYCLE_1)
	s_add_u32 s20, s0, s12
	s_addc_u32 s21, s1, s13
	s_add_u32 s12, s12, 1
	global_load_u8 v2, v3, s[20:21]
	s_addc_u32 s13, s13, 0
	s_waitcnt vmcnt(0)
	v_and_b32_e32 v2, 0xffff, v2
	s_delay_alu instid0(VALU_DEP_1) | instskip(SKIP_3) | instid1(VALU_DEP_1)
	v_lshlrev_b64 v[20:21], s10, v[2:3]
	s_add_u32 s10, s10, 8
	s_addc_u32 s11, s11, 0
	s_cmp_lg_u32 s14, s12
	v_or_b32_e32 v18, v20, v18
	s_delay_alu instid0(VALU_DEP_2)
	v_or_b32_e32 v19, v21, v19
	s_cbranch_scc1 .LBB6_2620
.LBB6_2621:                             ;   in Loop: Header=BB6_2578 Depth=1
	s_mov_b32 s10, 0
	s_mov_b32 s15, 0
	s_branch .LBB6_2623
.LBB6_2622:                             ;   in Loop: Header=BB6_2578 Depth=1
	s_mov_b32 s10, -1
                                        ; implicit-def: $vgpr18_vgpr19
                                        ; implicit-def: $sgpr15
.LBB6_2623:                             ;   in Loop: Header=BB6_2578 Depth=1
	s_delay_alu instid0(SALU_CYCLE_1)
	s_and_not1_b32 vcc_lo, exec_lo, s10
	s_cbranch_vccnz .LBB6_2625
; %bb.2624:                             ;   in Loop: Header=BB6_2578 Depth=1
	global_load_b64 v[18:19], v3, s[0:1]
	s_add_i32 s15, s14, -8
	s_add_u32 s0, s0, 8
	s_addc_u32 s1, s1, 0
.LBB6_2625:                             ;   in Loop: Header=BB6_2578 Depth=1
	s_cmp_gt_u32 s15, 7
	s_cbranch_scc1 .LBB6_2630
; %bb.2626:                             ;   in Loop: Header=BB6_2578 Depth=1
	v_mov_b32_e32 v20, 0
	v_mov_b32_e32 v21, 0
	s_cmp_eq_u32 s15, 0
	s_cbranch_scc1 .LBB6_2629
; %bb.2627:                             ;   in Loop: Header=BB6_2578 Depth=1
	s_mov_b64 s[10:11], 0
	s_mov_b64 s[12:13], s[0:1]
.LBB6_2628:                             ;   Parent Loop BB6_2578 Depth=1
                                        ; =>  This Inner Loop Header: Depth=2
	global_load_u8 v2, v3, s[12:13]
	s_add_i32 s15, s15, -1
	s_waitcnt vmcnt(0)
	v_and_b32_e32 v2, 0xffff, v2
	s_delay_alu instid0(VALU_DEP_1)
	v_lshlrev_b64 v[22:23], s10, v[2:3]
	s_add_u32 s10, s10, 8
	s_addc_u32 s11, s11, 0
	s_add_u32 s12, s12, 1
	s_addc_u32 s13, s13, 0
	s_cmp_lg_u32 s15, 0
	v_or_b32_e32 v20, v22, v20
	v_or_b32_e32 v21, v23, v21
	s_cbranch_scc1 .LBB6_2628
.LBB6_2629:                             ;   in Loop: Header=BB6_2578 Depth=1
	s_mov_b32 s10, 0
	s_branch .LBB6_2631
.LBB6_2630:                             ;   in Loop: Header=BB6_2578 Depth=1
	s_mov_b32 s10, -1
.LBB6_2631:                             ;   in Loop: Header=BB6_2578 Depth=1
	s_delay_alu instid0(SALU_CYCLE_1)
	s_and_not1_b32 vcc_lo, exec_lo, s10
	s_cbranch_vccnz .LBB6_2633
; %bb.2632:                             ;   in Loop: Header=BB6_2578 Depth=1
	global_load_b64 v[20:21], v3, s[0:1]
.LBB6_2633:                             ;   in Loop: Header=BB6_2578 Depth=1
	v_readfirstlane_b32 s0, v29
	v_mov_b32_e32 v26, 0
	v_mov_b32_e32 v27, 0
	s_delay_alu instid0(VALU_DEP_3) | instskip(NEXT) | instid1(VALU_DEP_1)
	v_cmp_eq_u32_e64 s0, s0, v29
	s_and_saveexec_b32 s1, s0
	s_cbranch_execz .LBB6_2639
; %bb.2634:                             ;   in Loop: Header=BB6_2578 Depth=1
	global_load_b64 v[24:25], v3, s[2:3] offset:24 glc
	s_waitcnt vmcnt(0)
	buffer_gl1_inv
	buffer_gl0_inv
	s_clause 0x1
	global_load_b64 v[22:23], v3, s[2:3] offset:40
	global_load_b64 v[26:27], v3, s[2:3]
	s_mov_b32 s10, exec_lo
	s_waitcnt vmcnt(1)
	v_and_b32_e32 v2, v23, v25
	v_and_b32_e32 v22, v22, v24
	s_delay_alu instid0(VALU_DEP_2) | instskip(NEXT) | instid1(VALU_DEP_2)
	v_mul_lo_u32 v2, v2, 24
	v_mul_hi_u32 v23, v22, 24
	v_mul_lo_u32 v22, v22, 24
	s_delay_alu instid0(VALU_DEP_2) | instskip(SKIP_1) | instid1(VALU_DEP_2)
	v_add_nc_u32_e32 v2, v23, v2
	s_waitcnt vmcnt(0)
	v_add_co_u32 v22, vcc_lo, v26, v22
	s_delay_alu instid0(VALU_DEP_2)
	v_add_co_ci_u32_e32 v23, vcc_lo, v27, v2, vcc_lo
	global_load_b64 v[22:23], v[22:23], off glc
	s_waitcnt vmcnt(0)
	global_atomic_cmpswap_b64 v[26:27], v3, v[22:25], s[2:3] offset:24 glc
	s_waitcnt vmcnt(0)
	buffer_gl1_inv
	buffer_gl0_inv
	v_cmpx_ne_u64_e64 v[26:27], v[24:25]
	s_cbranch_execz .LBB6_2638
; %bb.2635:                             ;   in Loop: Header=BB6_2578 Depth=1
	s_mov_b32 s11, 0
.LBB6_2636:                             ;   Parent Loop BB6_2578 Depth=1
                                        ; =>  This Inner Loop Header: Depth=2
	s_sleep 1
	s_clause 0x1
	global_load_b64 v[22:23], v3, s[2:3] offset:40
	global_load_b64 v[30:31], v3, s[2:3]
	v_dual_mov_b32 v24, v26 :: v_dual_mov_b32 v25, v27
	s_waitcnt vmcnt(1)
	s_delay_alu instid0(VALU_DEP_1) | instskip(SKIP_1) | instid1(VALU_DEP_1)
	v_and_b32_e32 v2, v22, v24
	s_waitcnt vmcnt(0)
	v_mad_u64_u32 v[26:27], null, v2, 24, v[30:31]
	v_and_b32_e32 v30, v23, v25
	s_delay_alu instid0(VALU_DEP_2) | instskip(NEXT) | instid1(VALU_DEP_1)
	v_mov_b32_e32 v2, v27
	v_mad_u64_u32 v[22:23], null, v30, 24, v[2:3]
	s_delay_alu instid0(VALU_DEP_1)
	v_mov_b32_e32 v27, v22
	global_load_b64 v[22:23], v[26:27], off glc
	s_waitcnt vmcnt(0)
	global_atomic_cmpswap_b64 v[26:27], v3, v[22:25], s[2:3] offset:24 glc
	s_waitcnt vmcnt(0)
	buffer_gl1_inv
	buffer_gl0_inv
	v_cmp_eq_u64_e32 vcc_lo, v[26:27], v[24:25]
	s_or_b32 s11, vcc_lo, s11
	s_delay_alu instid0(SALU_CYCLE_1)
	s_and_not1_b32 exec_lo, exec_lo, s11
	s_cbranch_execnz .LBB6_2636
; %bb.2637:                             ;   in Loop: Header=BB6_2578 Depth=1
	s_or_b32 exec_lo, exec_lo, s11
.LBB6_2638:                             ;   in Loop: Header=BB6_2578 Depth=1
	s_delay_alu instid0(SALU_CYCLE_1)
	s_or_b32 exec_lo, exec_lo, s10
.LBB6_2639:                             ;   in Loop: Header=BB6_2578 Depth=1
	s_delay_alu instid0(SALU_CYCLE_1)
	s_or_b32 exec_lo, exec_lo, s1
	s_clause 0x1
	global_load_b64 v[30:31], v3, s[2:3] offset:40
	global_load_b128 v[22:25], v3, s[2:3]
	v_readfirstlane_b32 s10, v26
	v_readfirstlane_b32 s11, v27
	s_mov_b32 s1, exec_lo
	s_waitcnt vmcnt(1)
	v_readfirstlane_b32 s12, v30
	v_readfirstlane_b32 s13, v31
	s_delay_alu instid0(VALU_DEP_1) | instskip(NEXT) | instid1(SALU_CYCLE_1)
	s_and_b64 s[12:13], s[10:11], s[12:13]
	s_mul_i32 s14, s13, 24
	s_mul_hi_u32 s15, s12, 24
	s_mul_i32 s16, s12, 24
	s_add_i32 s15, s15, s14
	s_waitcnt vmcnt(0)
	v_add_co_u32 v26, vcc_lo, v22, s16
	v_add_co_ci_u32_e32 v27, vcc_lo, s15, v23, vcc_lo
	s_and_saveexec_b32 s14, s0
	s_cbranch_execz .LBB6_2641
; %bb.2640:                             ;   in Loop: Header=BB6_2578 Depth=1
	v_mov_b32_e32 v2, s1
	global_store_b128 v[26:27], v[2:5], off offset:8
.LBB6_2641:                             ;   in Loop: Header=BB6_2578 Depth=1
	s_or_b32 exec_lo, exec_lo, s14
	s_lshl_b64 s[12:13], s[12:13], 12
	v_or_b32_e32 v2, 2, v6
	v_add_co_u32 v24, vcc_lo, v24, s12
	v_add_co_ci_u32_e32 v25, vcc_lo, s13, v25, vcc_lo
	v_cmp_gt_u64_e64 vcc_lo, s[6:7], 56
	s_lshl_b32 s1, s8, 2
	s_delay_alu instid0(VALU_DEP_3) | instskip(SKIP_4) | instid1(VALU_DEP_1)
	v_readfirstlane_b32 s12, v24
	s_add_i32 s1, s1, 28
	v_readfirstlane_b32 s13, v25
	s_and_b32 s1, s1, 0x1e0
	v_cndmask_b32_e32 v2, v2, v6, vcc_lo
	v_and_or_b32 v6, 0xffffff1f, v2, s1
	s_clause 0x3
	global_store_b128 v28, v[6:9], s[12:13]
	global_store_b128 v28, v[10:13], s[12:13] offset:16
	global_store_b128 v28, v[14:17], s[12:13] offset:32
	;; [unrolled: 1-line block ×3, first 2 shown]
	s_and_saveexec_b32 s1, s0
	s_cbranch_execz .LBB6_2649
; %bb.2642:                             ;   in Loop: Header=BB6_2578 Depth=1
	s_clause 0x1
	global_load_b64 v[14:15], v3, s[2:3] offset:32 glc
	global_load_b64 v[6:7], v3, s[2:3] offset:40
	v_dual_mov_b32 v12, s10 :: v_dual_mov_b32 v13, s11
	s_waitcnt vmcnt(0)
	v_readfirstlane_b32 s12, v6
	v_readfirstlane_b32 s13, v7
	s_delay_alu instid0(VALU_DEP_1) | instskip(NEXT) | instid1(SALU_CYCLE_1)
	s_and_b64 s[12:13], s[12:13], s[10:11]
	s_mul_i32 s13, s13, 24
	s_mul_hi_u32 s14, s12, 24
	s_mul_i32 s12, s12, 24
	s_add_i32 s14, s14, s13
	v_add_co_u32 v10, vcc_lo, v22, s12
	v_add_co_ci_u32_e32 v11, vcc_lo, s14, v23, vcc_lo
	s_mov_b32 s12, exec_lo
	global_store_b64 v[10:11], v[14:15], off
	s_waitcnt_vscnt null, 0x0
	global_atomic_cmpswap_b64 v[8:9], v3, v[12:15], s[2:3] offset:32 glc
	s_waitcnt vmcnt(0)
	v_cmpx_ne_u64_e64 v[8:9], v[14:15]
	s_cbranch_execz .LBB6_2645
; %bb.2643:                             ;   in Loop: Header=BB6_2578 Depth=1
	s_mov_b32 s13, 0
.LBB6_2644:                             ;   Parent Loop BB6_2578 Depth=1
                                        ; =>  This Inner Loop Header: Depth=2
	v_dual_mov_b32 v6, s10 :: v_dual_mov_b32 v7, s11
	s_sleep 1
	global_store_b64 v[10:11], v[8:9], off
	s_waitcnt_vscnt null, 0x0
	global_atomic_cmpswap_b64 v[6:7], v3, v[6:9], s[2:3] offset:32 glc
	s_waitcnt vmcnt(0)
	v_cmp_eq_u64_e32 vcc_lo, v[6:7], v[8:9]
	v_dual_mov_b32 v9, v7 :: v_dual_mov_b32 v8, v6
	s_or_b32 s13, vcc_lo, s13
	s_delay_alu instid0(SALU_CYCLE_1)
	s_and_not1_b32 exec_lo, exec_lo, s13
	s_cbranch_execnz .LBB6_2644
.LBB6_2645:                             ;   in Loop: Header=BB6_2578 Depth=1
	s_or_b32 exec_lo, exec_lo, s12
	global_load_b64 v[6:7], v3, s[2:3] offset:16
	s_mov_b32 s13, exec_lo
	s_mov_b32 s12, exec_lo
	v_mbcnt_lo_u32_b32 v2, s13, 0
	s_delay_alu instid0(VALU_DEP_1)
	v_cmpx_eq_u32_e32 0, v2
	s_cbranch_execz .LBB6_2647
; %bb.2646:                             ;   in Loop: Header=BB6_2578 Depth=1
	s_bcnt1_i32_b32 s13, s13
	s_delay_alu instid0(SALU_CYCLE_1)
	v_mov_b32_e32 v2, s13
	s_waitcnt vmcnt(0)
	global_atomic_add_u64 v[6:7], v[2:3], off offset:8
.LBB6_2647:                             ;   in Loop: Header=BB6_2578 Depth=1
	s_or_b32 exec_lo, exec_lo, s12
	s_waitcnt vmcnt(0)
	global_load_b64 v[8:9], v[6:7], off offset:16
	s_waitcnt vmcnt(0)
	v_cmp_eq_u64_e32 vcc_lo, 0, v[8:9]
	s_cbranch_vccnz .LBB6_2649
; %bb.2648:                             ;   in Loop: Header=BB6_2578 Depth=1
	global_load_b32 v2, v[6:7], off offset:24
	s_waitcnt vmcnt(0)
	v_and_b32_e32 v6, 0xffffff, v2
	s_waitcnt_vscnt null, 0x0
	global_store_b64 v[8:9], v[2:3], off
	v_readfirstlane_b32 m0, v6
	s_sendmsg sendmsg(MSG_INTERRUPT)
.LBB6_2649:                             ;   in Loop: Header=BB6_2578 Depth=1
	s_or_b32 exec_lo, exec_lo, s1
	v_add_co_u32 v6, vcc_lo, v24, v28
	v_add_co_ci_u32_e32 v7, vcc_lo, 0, v25, vcc_lo
	s_branch .LBB6_2651
.LBB6_2650:                             ;   in Loop: Header=BB6_2578 Depth=1
	s_branch .LBB6_2655
.LBB6_2651:                             ;   Parent Loop BB6_2578 Depth=1
                                        ; =>  This Inner Loop Header: Depth=2
	v_mov_b32_e32 v2, 1
	s_and_saveexec_b32 s1, s0
	s_cbranch_execz .LBB6_2653
; %bb.2652:                             ;   in Loop: Header=BB6_2651 Depth=2
	global_load_b32 v2, v[26:27], off offset:20 glc
	s_waitcnt vmcnt(0)
	buffer_gl1_inv
	buffer_gl0_inv
	v_and_b32_e32 v2, 1, v2
.LBB6_2653:                             ;   in Loop: Header=BB6_2651 Depth=2
	s_or_b32 exec_lo, exec_lo, s1
	s_delay_alu instid0(VALU_DEP_1) | instskip(NEXT) | instid1(VALU_DEP_1)
	v_readfirstlane_b32 s1, v2
	s_cmp_eq_u32 s1, 0
	s_cbranch_scc1 .LBB6_2650
; %bb.2654:                             ;   in Loop: Header=BB6_2651 Depth=2
	s_sleep 1
	s_cbranch_execnz .LBB6_2651
.LBB6_2655:                             ;   in Loop: Header=BB6_2578 Depth=1
	global_load_b128 v[6:9], v[6:7], off
	s_and_saveexec_b32 s1, s0
	s_cbranch_execz .LBB6_2577
; %bb.2656:                             ;   in Loop: Header=BB6_2578 Depth=1
	s_clause 0x2
	global_load_b64 v[10:11], v3, s[2:3] offset:40
	global_load_b64 v[14:15], v3, s[2:3] offset:24 glc
	global_load_b64 v[12:13], v3, s[2:3]
	s_waitcnt vmcnt(2)
	v_add_co_u32 v2, vcc_lo, v10, 1
	v_add_co_ci_u32_e32 v16, vcc_lo, 0, v11, vcc_lo
	s_delay_alu instid0(VALU_DEP_2) | instskip(NEXT) | instid1(VALU_DEP_2)
	v_add_co_u32 v8, vcc_lo, v2, s10
	v_add_co_ci_u32_e32 v9, vcc_lo, s11, v16, vcc_lo
	s_delay_alu instid0(VALU_DEP_1) | instskip(SKIP_1) | instid1(VALU_DEP_1)
	v_cmp_eq_u64_e32 vcc_lo, 0, v[8:9]
	v_dual_cndmask_b32 v9, v9, v16 :: v_dual_cndmask_b32 v8, v8, v2
	v_and_b32_e32 v2, v9, v11
	s_delay_alu instid0(VALU_DEP_2) | instskip(NEXT) | instid1(VALU_DEP_2)
	v_and_b32_e32 v10, v8, v10
	v_mul_lo_u32 v2, v2, 24
	s_delay_alu instid0(VALU_DEP_2) | instskip(SKIP_1) | instid1(VALU_DEP_2)
	v_mul_hi_u32 v11, v10, 24
	v_mul_lo_u32 v10, v10, 24
	v_add_nc_u32_e32 v2, v11, v2
	s_waitcnt vmcnt(1)
	v_mov_b32_e32 v11, v15
	s_waitcnt vmcnt(0)
	s_delay_alu instid0(VALU_DEP_3)
	v_add_co_u32 v12, vcc_lo, v12, v10
	v_mov_b32_e32 v10, v14
	v_add_co_ci_u32_e32 v13, vcc_lo, v13, v2, vcc_lo
	global_store_b64 v[12:13], v[14:15], off
	s_waitcnt_vscnt null, 0x0
	global_atomic_cmpswap_b64 v[10:11], v3, v[8:11], s[2:3] offset:24 glc
	s_waitcnt vmcnt(0)
	v_cmp_ne_u64_e32 vcc_lo, v[10:11], v[14:15]
	s_and_b32 exec_lo, exec_lo, vcc_lo
	s_cbranch_execz .LBB6_2577
; %bb.2657:                             ;   in Loop: Header=BB6_2578 Depth=1
	s_mov_b32 s0, 0
.LBB6_2658:                             ;   Parent Loop BB6_2578 Depth=1
                                        ; =>  This Inner Loop Header: Depth=2
	s_sleep 1
	global_store_b64 v[12:13], v[10:11], off
	s_waitcnt_vscnt null, 0x0
	global_atomic_cmpswap_b64 v[14:15], v3, v[8:11], s[2:3] offset:24 glc
	s_waitcnt vmcnt(0)
	v_cmp_eq_u64_e32 vcc_lo, v[14:15], v[10:11]
	v_dual_mov_b32 v10, v14 :: v_dual_mov_b32 v11, v15
	s_or_b32 s0, vcc_lo, s0
	s_delay_alu instid0(SALU_CYCLE_1)
	s_and_not1_b32 exec_lo, exec_lo, s0
	s_cbranch_execnz .LBB6_2658
	s_branch .LBB6_2577
.LBB6_2659:
	s_mov_b32 s0, 0
	s_branch .LBB6_2661
.LBB6_2660:
	s_mov_b32 s0, -1
.LBB6_2661:
	s_delay_alu instid0(SALU_CYCLE_1)
	s_and_b32 vcc_lo, exec_lo, s0
	s_cbranch_vccz .LBB6_2689
; %bb.2662:
	v_readfirstlane_b32 s0, v29
	s_waitcnt vmcnt(0)
	v_mov_b32_e32 v8, 0
	v_mov_b32_e32 v9, 0
	s_delay_alu instid0(VALU_DEP_3) | instskip(NEXT) | instid1(VALU_DEP_1)
	v_cmp_eq_u32_e64 s0, s0, v29
	s_and_saveexec_b32 s1, s0
	s_cbranch_execz .LBB6_2668
; %bb.2663:
	v_mov_b32_e32 v2, 0
	s_mov_b32 s4, exec_lo
	global_load_b64 v[5:6], v2, s[2:3] offset:24 glc
	s_waitcnt vmcnt(0)
	buffer_gl1_inv
	buffer_gl0_inv
	s_clause 0x1
	global_load_b64 v[3:4], v2, s[2:3] offset:40
	global_load_b64 v[7:8], v2, s[2:3]
	s_waitcnt vmcnt(1)
	v_and_b32_e32 v3, v3, v5
	v_and_b32_e32 v4, v4, v6
	s_delay_alu instid0(VALU_DEP_2) | instskip(NEXT) | instid1(VALU_DEP_2)
	v_mul_hi_u32 v9, v3, 24
	v_mul_lo_u32 v4, v4, 24
	v_mul_lo_u32 v3, v3, 24
	s_delay_alu instid0(VALU_DEP_2) | instskip(SKIP_1) | instid1(VALU_DEP_2)
	v_add_nc_u32_e32 v4, v9, v4
	s_waitcnt vmcnt(0)
	v_add_co_u32 v3, vcc_lo, v7, v3
	s_delay_alu instid0(VALU_DEP_2)
	v_add_co_ci_u32_e32 v4, vcc_lo, v8, v4, vcc_lo
	global_load_b64 v[3:4], v[3:4], off glc
	s_waitcnt vmcnt(0)
	global_atomic_cmpswap_b64 v[8:9], v2, v[3:6], s[2:3] offset:24 glc
	s_waitcnt vmcnt(0)
	buffer_gl1_inv
	buffer_gl0_inv
	v_cmpx_ne_u64_e64 v[8:9], v[5:6]
	s_cbranch_execz .LBB6_2667
; %bb.2664:
	s_mov_b32 s5, 0
.LBB6_2665:                             ; =>This Inner Loop Header: Depth=1
	s_sleep 1
	s_clause 0x1
	global_load_b64 v[3:4], v2, s[2:3] offset:40
	global_load_b64 v[10:11], v2, s[2:3]
	v_dual_mov_b32 v5, v8 :: v_dual_mov_b32 v6, v9
	s_waitcnt vmcnt(1)
	s_delay_alu instid0(VALU_DEP_1) | instskip(NEXT) | instid1(VALU_DEP_2)
	v_and_b32_e32 v3, v3, v5
	v_and_b32_e32 v4, v4, v6
	s_waitcnt vmcnt(0)
	s_delay_alu instid0(VALU_DEP_2) | instskip(NEXT) | instid1(VALU_DEP_1)
	v_mad_u64_u32 v[7:8], null, v3, 24, v[10:11]
	v_mov_b32_e32 v3, v8
	s_delay_alu instid0(VALU_DEP_1)
	v_mad_u64_u32 v[8:9], null, v4, 24, v[3:4]
	global_load_b64 v[3:4], v[7:8], off glc
	s_waitcnt vmcnt(0)
	global_atomic_cmpswap_b64 v[8:9], v2, v[3:6], s[2:3] offset:24 glc
	s_waitcnt vmcnt(0)
	buffer_gl1_inv
	buffer_gl0_inv
	v_cmp_eq_u64_e32 vcc_lo, v[8:9], v[5:6]
	s_or_b32 s5, vcc_lo, s5
	s_delay_alu instid0(SALU_CYCLE_1)
	s_and_not1_b32 exec_lo, exec_lo, s5
	s_cbranch_execnz .LBB6_2665
; %bb.2666:
	s_or_b32 exec_lo, exec_lo, s5
.LBB6_2667:
	s_delay_alu instid0(SALU_CYCLE_1)
	s_or_b32 exec_lo, exec_lo, s4
.LBB6_2668:
	s_delay_alu instid0(SALU_CYCLE_1)
	s_or_b32 exec_lo, exec_lo, s1
	v_mov_b32_e32 v2, 0
	v_readfirstlane_b32 s4, v8
	v_readfirstlane_b32 s5, v9
	s_mov_b32 s1, exec_lo
	s_clause 0x1
	global_load_b64 v[10:11], v2, s[2:3] offset:40
	global_load_b128 v[4:7], v2, s[2:3]
	s_waitcnt vmcnt(1)
	v_readfirstlane_b32 s6, v10
	v_readfirstlane_b32 s7, v11
	s_delay_alu instid0(VALU_DEP_1) | instskip(NEXT) | instid1(SALU_CYCLE_1)
	s_and_b64 s[6:7], s[4:5], s[6:7]
	s_mul_i32 s8, s7, 24
	s_mul_hi_u32 s9, s6, 24
	s_mul_i32 s10, s6, 24
	s_add_i32 s9, s9, s8
	s_waitcnt vmcnt(0)
	v_add_co_u32 v8, vcc_lo, v4, s10
	v_add_co_ci_u32_e32 v9, vcc_lo, s9, v5, vcc_lo
	s_and_saveexec_b32 s8, s0
	s_cbranch_execz .LBB6_2670
; %bb.2669:
	v_dual_mov_b32 v10, s1 :: v_dual_mov_b32 v11, v2
	v_dual_mov_b32 v12, 2 :: v_dual_mov_b32 v13, 1
	global_store_b128 v[8:9], v[10:13], off offset:8
.LBB6_2670:
	s_or_b32 exec_lo, exec_lo, s8
	s_lshl_b64 s[6:7], s[6:7], 12
	s_mov_b32 s8, 0
	v_add_co_u32 v6, vcc_lo, v6, s6
	v_add_co_ci_u32_e32 v7, vcc_lo, s7, v7, vcc_lo
	s_mov_b32 s11, s8
	s_mov_b32 s9, s8
	;; [unrolled: 1-line block ×3, first 2 shown]
	v_and_or_b32 v0, 0xffffff1d, v0, 34
	v_mov_b32_e32 v3, v2
	v_readfirstlane_b32 s6, v6
	v_readfirstlane_b32 s7, v7
	v_dual_mov_b32 v13, s11 :: v_dual_mov_b32 v10, s8
	v_dual_mov_b32 v12, s10 :: v_dual_mov_b32 v11, s9
	s_clause 0x3
	global_store_b128 v28, v[0:3], s[6:7]
	global_store_b128 v28, v[10:13], s[6:7] offset:16
	global_store_b128 v28, v[10:13], s[6:7] offset:32
	;; [unrolled: 1-line block ×3, first 2 shown]
	s_and_saveexec_b32 s1, s0
	s_cbranch_execz .LBB6_2678
; %bb.2671:
	v_dual_mov_b32 v6, 0 :: v_dual_mov_b32 v11, s5
	v_mov_b32_e32 v10, s4
	s_clause 0x1
	global_load_b64 v[12:13], v6, s[2:3] offset:32 glc
	global_load_b64 v[0:1], v6, s[2:3] offset:40
	s_waitcnt vmcnt(0)
	v_readfirstlane_b32 s6, v0
	v_readfirstlane_b32 s7, v1
	s_delay_alu instid0(VALU_DEP_1) | instskip(NEXT) | instid1(SALU_CYCLE_1)
	s_and_b64 s[6:7], s[6:7], s[4:5]
	s_mul_i32 s7, s7, 24
	s_mul_hi_u32 s8, s6, 24
	s_mul_i32 s6, s6, 24
	s_add_i32 s8, s8, s7
	v_add_co_u32 v4, vcc_lo, v4, s6
	v_add_co_ci_u32_e32 v5, vcc_lo, s8, v5, vcc_lo
	s_mov_b32 s6, exec_lo
	global_store_b64 v[4:5], v[12:13], off
	s_waitcnt_vscnt null, 0x0
	global_atomic_cmpswap_b64 v[2:3], v6, v[10:13], s[2:3] offset:32 glc
	s_waitcnt vmcnt(0)
	v_cmpx_ne_u64_e64 v[2:3], v[12:13]
	s_cbranch_execz .LBB6_2674
; %bb.2672:
	s_mov_b32 s7, 0
.LBB6_2673:                             ; =>This Inner Loop Header: Depth=1
	v_dual_mov_b32 v0, s4 :: v_dual_mov_b32 v1, s5
	s_sleep 1
	global_store_b64 v[4:5], v[2:3], off
	s_waitcnt_vscnt null, 0x0
	global_atomic_cmpswap_b64 v[0:1], v6, v[0:3], s[2:3] offset:32 glc
	s_waitcnt vmcnt(0)
	v_cmp_eq_u64_e32 vcc_lo, v[0:1], v[2:3]
	v_dual_mov_b32 v3, v1 :: v_dual_mov_b32 v2, v0
	s_or_b32 s7, vcc_lo, s7
	s_delay_alu instid0(SALU_CYCLE_1)
	s_and_not1_b32 exec_lo, exec_lo, s7
	s_cbranch_execnz .LBB6_2673
.LBB6_2674:
	s_or_b32 exec_lo, exec_lo, s6
	v_mov_b32_e32 v3, 0
	s_mov_b32 s7, exec_lo
	s_mov_b32 s6, exec_lo
	v_mbcnt_lo_u32_b32 v2, s7, 0
	global_load_b64 v[0:1], v3, s[2:3] offset:16
	v_cmpx_eq_u32_e32 0, v2
	s_cbranch_execz .LBB6_2676
; %bb.2675:
	s_bcnt1_i32_b32 s7, s7
	s_delay_alu instid0(SALU_CYCLE_1)
	v_mov_b32_e32 v2, s7
	s_waitcnt vmcnt(0)
	global_atomic_add_u64 v[0:1], v[2:3], off offset:8
.LBB6_2676:
	s_or_b32 exec_lo, exec_lo, s6
	s_waitcnt vmcnt(0)
	global_load_b64 v[2:3], v[0:1], off offset:16
	s_waitcnt vmcnt(0)
	v_cmp_eq_u64_e32 vcc_lo, 0, v[2:3]
	s_cbranch_vccnz .LBB6_2678
; %bb.2677:
	global_load_b32 v0, v[0:1], off offset:24
	s_waitcnt vmcnt(0)
	v_dual_mov_b32 v1, 0 :: v_dual_and_b32 v4, 0xffffff, v0
	s_waitcnt_vscnt null, 0x0
	global_store_b64 v[2:3], v[0:1], off
	v_readfirstlane_b32 m0, v4
	s_sendmsg sendmsg(MSG_INTERRUPT)
.LBB6_2678:
	s_or_b32 exec_lo, exec_lo, s1
	s_branch .LBB6_2680
.LBB6_2679:
	s_branch .LBB6_2684
.LBB6_2680:                             ; =>This Inner Loop Header: Depth=1
	v_mov_b32_e32 v0, 1
	s_and_saveexec_b32 s1, s0
	s_cbranch_execz .LBB6_2682
; %bb.2681:                             ;   in Loop: Header=BB6_2680 Depth=1
	global_load_b32 v0, v[8:9], off offset:20 glc
	s_waitcnt vmcnt(0)
	buffer_gl1_inv
	buffer_gl0_inv
	v_and_b32_e32 v0, 1, v0
.LBB6_2682:                             ;   in Loop: Header=BB6_2680 Depth=1
	s_or_b32 exec_lo, exec_lo, s1
	s_delay_alu instid0(VALU_DEP_1) | instskip(NEXT) | instid1(VALU_DEP_1)
	v_readfirstlane_b32 s1, v0
	s_cmp_eq_u32 s1, 0
	s_cbranch_scc1 .LBB6_2679
; %bb.2683:                             ;   in Loop: Header=BB6_2680 Depth=1
	s_sleep 1
	s_cbranch_execnz .LBB6_2680
.LBB6_2684:
	s_and_saveexec_b32 s1, s0
	s_cbranch_execz .LBB6_2688
; %bb.2685:
	v_mov_b32_e32 v6, 0
	s_clause 0x2
	global_load_b64 v[2:3], v6, s[2:3] offset:40
	global_load_b64 v[7:8], v6, s[2:3] offset:24 glc
	global_load_b64 v[4:5], v6, s[2:3]
	s_waitcnt vmcnt(2)
	v_add_co_u32 v9, vcc_lo, v2, 1
	v_add_co_ci_u32_e32 v10, vcc_lo, 0, v3, vcc_lo
	s_delay_alu instid0(VALU_DEP_2) | instskip(NEXT) | instid1(VALU_DEP_2)
	v_add_co_u32 v0, vcc_lo, v9, s4
	v_add_co_ci_u32_e32 v1, vcc_lo, s5, v10, vcc_lo
	s_delay_alu instid0(VALU_DEP_1) | instskip(SKIP_1) | instid1(VALU_DEP_1)
	v_cmp_eq_u64_e32 vcc_lo, 0, v[0:1]
	v_dual_cndmask_b32 v1, v1, v10 :: v_dual_cndmask_b32 v0, v0, v9
	v_and_b32_e32 v3, v1, v3
	s_delay_alu instid0(VALU_DEP_2) | instskip(NEXT) | instid1(VALU_DEP_2)
	v_and_b32_e32 v2, v0, v2
	v_mul_lo_u32 v3, v3, 24
	s_delay_alu instid0(VALU_DEP_2) | instskip(SKIP_1) | instid1(VALU_DEP_2)
	v_mul_hi_u32 v9, v2, 24
	v_mul_lo_u32 v2, v2, 24
	v_add_nc_u32_e32 v3, v9, v3
	s_waitcnt vmcnt(0)
	s_delay_alu instid0(VALU_DEP_2) | instskip(SKIP_1) | instid1(VALU_DEP_3)
	v_add_co_u32 v4, vcc_lo, v4, v2
	v_mov_b32_e32 v2, v7
	v_add_co_ci_u32_e32 v5, vcc_lo, v5, v3, vcc_lo
	v_mov_b32_e32 v3, v8
	global_store_b64 v[4:5], v[7:8], off
	s_waitcnt_vscnt null, 0x0
	global_atomic_cmpswap_b64 v[2:3], v6, v[0:3], s[2:3] offset:24 glc
	s_waitcnt vmcnt(0)
	v_cmp_ne_u64_e32 vcc_lo, v[2:3], v[7:8]
	s_and_b32 exec_lo, exec_lo, vcc_lo
	s_cbranch_execz .LBB6_2688
; %bb.2686:
	s_mov_b32 s0, 0
.LBB6_2687:                             ; =>This Inner Loop Header: Depth=1
	s_sleep 1
	global_store_b64 v[4:5], v[2:3], off
	s_waitcnt_vscnt null, 0x0
	global_atomic_cmpswap_b64 v[7:8], v6, v[0:3], s[2:3] offset:24 glc
	s_waitcnt vmcnt(0)
	v_cmp_eq_u64_e32 vcc_lo, v[7:8], v[2:3]
	v_dual_mov_b32 v2, v7 :: v_dual_mov_b32 v3, v8
	s_or_b32 s0, vcc_lo, s0
	s_delay_alu instid0(SALU_CYCLE_1)
	s_and_not1_b32 exec_lo, exec_lo, s0
	s_cbranch_execnz .LBB6_2687
.LBB6_2688:
	s_or_b32 exec_lo, exec_lo, s1
.LBB6_2689:
	s_getpc_b64 s[0:1]
	s_add_u32 s0, s0, .str.29@rel32@lo+4
	s_addc_u32 s1, s1, .str.29@rel32@hi+12
	s_getpc_b64 s[2:3]
	s_add_u32 s2, s2, .str.19@rel32@lo+4
	s_addc_u32 s3, s3, .str.19@rel32@hi+12
	s_getpc_b64 s[4:5]
	s_add_u32 s4, s4, __PRETTY_FUNCTION__._ZN7VecsMemIjLi8192EE5fetchEi@rel32@lo+4
	s_addc_u32 s5, s5, __PRETTY_FUNCTION__._ZN7VecsMemIjLi8192EE5fetchEi@rel32@hi+12
	s_waitcnt vmcnt(0)
	v_dual_mov_b32 v0, s0 :: v_dual_mov_b32 v1, s1
	v_dual_mov_b32 v2, s2 :: v_dual_mov_b32 v3, s3
	;; [unrolled: 1-line block ×3, first 2 shown]
	v_mov_b32_e32 v6, s5
	s_mov_b64 s[8:9], s[44:45]
	s_getpc_b64 s[6:7]
	s_add_u32 s6, s6, __assert_fail@rel32@lo+4
	s_addc_u32 s7, s7, __assert_fail@rel32@hi+12
	s_delay_alu instid0(SALU_CYCLE_1)
	s_swappc_b64 s[30:31], s[6:7]
	s_or_b32 s18, s18, exec_lo
                                        ; implicit-def: $vgpr40
.LBB6_2690:
	s_or_b32 exec_lo, exec_lo, s19
	v_readlane_b32 s0, v56, 29
	s_and_b32 s1, s18, exec_lo
	v_readlane_b32 s27, v56, 22
	s_and_b32 s2, s17, exec_lo
	s_delay_alu instid0(VALU_DEP_2) | instskip(NEXT) | instid1(SALU_CYCLE_1)
	s_and_not1_b32 s0, s0, exec_lo
	s_or_b32 s0, s0, s1
	v_readlane_b32 s1, v56, 28
.LBB6_2691:
	s_delay_alu instid0(VALU_DEP_1) | instskip(NEXT) | instid1(SALU_CYCLE_1)
	s_or_b32 exec_lo, exec_lo, s1
	s_and_not1_b32 s1, s27, exec_lo
	s_and_b32 s0, s0, exec_lo
	s_and_b32 s41, s2, exec_lo
	s_or_b32 s38, s1, s0
                                        ; implicit-def: $vgpr58
                                        ; implicit-def: $vgpr44
                                        ; implicit-def: $vgpr41
                                        ; implicit-def: $vgpr46
                                        ; implicit-def: $vgpr69
	v_readlane_b32 s21, v56, 12
	v_readlane_b32 s22, v56, 11
	;; [unrolled: 1-line block ×11, first 2 shown]
	s_mov_b32 s35, 0
	v_readlane_b32 s49, v56, 27
	v_readlane_b32 s37, v56, 17
	;; [unrolled: 1-line block ×9, first 2 shown]
.LBB6_2692:
	s_delay_alu instid0(VALU_DEP_1)
	s_and_not1_saveexec_b32 s0, s0
	s_cbranch_execz .LBB6_2904
; %bb.2693:
	s_getpc_b64 s[54:55]
	s_add_u32 s54, s54, _ZN3sop12sopFactorRecEPNS_3SopEiP7VecsMemIjLi8192EEPN8subgUtil4SubgILi256EEE@rel32@lo+4
	s_addc_u32 s55, s55, _ZN3sop12sopFactorRecEPNS_3SopEiP7VecsMemIjLi8192EEPN8subgUtil4SubgILi256EEE@rel32@hi+12
	v_writelane_b32 v56, s0, 21
	s_mov_b64 s[42:43], src_private_base
	s_add_i32 s0, s33, 0x80
	s_delay_alu instid0(SALU_CYCLE_1)
	v_dual_mov_b32 v73, v69 :: v_dual_mov_b32 v0, s0
	v_dual_mov_b32 v1, s43 :: v_dual_mov_b32 v2, v41
	;; [unrolled: 1-line block ×4, first 2 shown]
	s_mov_b64 s[8:9], s[44:45]
	v_writelane_b32 v56, s27, 22
	s_mov_b32 s50, s17
	s_mov_b32 s48, s34
	;; [unrolled: 1-line block ×6, first 2 shown]
	s_swappc_b64 s[30:31], s[54:55]
	s_add_i32 s0, s33, 0x90
	v_dual_mov_b32 v42, v0 :: v_dual_mov_b32 v1, s43
	v_dual_mov_b32 v0, s0 :: v_dual_mov_b32 v3, v58
	;; [unrolled: 1-line block ×3, first 2 shown]
	v_mov_b32_e32 v4, v59
	v_mov_b32_e32 v6, v45
	s_mov_b64 s[8:9], s[44:45]
	s_swappc_b64 s[30:31], s[54:55]
	flat_load_b32 v1, v[44:45]
	s_mov_b32 s0, s38
	s_mov_b32 s1, exec_lo
	s_waitcnt vmcnt(0) lgkmcnt(0)
	v_cmpx_lt_i32_e32 0xff, v1
	s_xor_b32 s17, exec_lo, s1
	s_cbranch_execz .LBB6_2695
; %bb.2694:
	s_getpc_b64 s[0:1]
	s_add_u32 s0, s0, .str.43@rel32@lo+4
	s_addc_u32 s1, s1, .str.43@rel32@hi+12
	s_getpc_b64 s[2:3]
	s_add_u32 s2, s2, .str.44@rel32@lo+4
	s_addc_u32 s3, s3, .str.44@rel32@hi+12
	s_getpc_b64 s[4:5]
	s_add_u32 s4, s4, __PRETTY_FUNCTION__._ZN8subgUtil4SubgILi256EE10addNodeAndEii@rel32@lo+4
	s_addc_u32 s5, s5, __PRETTY_FUNCTION__._ZN8subgUtil4SubgILi256EE10addNodeAndEii@rel32@hi+12
	v_dual_mov_b32 v0, s0 :: v_dual_mov_b32 v1, s1
	v_dual_mov_b32 v2, s2 :: v_dual_mov_b32 v3, s3
	;; [unrolled: 1-line block ×3, first 2 shown]
	v_mov_b32_e32 v6, s5
	s_mov_b64 s[8:9], s[44:45]
	s_getpc_b64 s[6:7]
	s_add_u32 s6, s6, __assert_fail@rel32@lo+4
	s_addc_u32 s7, s7, __assert_fail@rel32@hi+12
	s_delay_alu instid0(SALU_CYCLE_1)
	s_swappc_b64 s[30:31], s[6:7]
	s_or_b32 s0, s38, exec_lo
                                        ; implicit-def: $vgpr1
                                        ; implicit-def: $vgpr42
                                        ; implicit-def: $vgpr0
                                        ; implicit-def: $vgpr58
                                        ; implicit-def: $vgpr44
                                        ; implicit-def: $vgpr41
                                        ; implicit-def: $vgpr46
                                        ; implicit-def: $vgpr73
.LBB6_2695:
	s_or_saveexec_b32 s1, s17
	s_mov_b32 s2, s41
                                        ; implicit-def: $vgpr40
	s_xor_b32 exec_lo, exec_lo, s1
	s_cbranch_execz .LBB6_2903
; %bb.2696:
	v_writelane_b32 v56, s1, 15
	v_or_b32_e32 v2, v0, v42
	s_mov_b32 s1, -1
	s_mov_b32 s17, s41
	s_mov_b32 s18, s0
	v_writelane_b32 v56, s38, 14
	s_mov_b32 s38, s0
                                        ; implicit-def: $vgpr40
	s_mov_b32 s0, exec_lo
	v_writelane_b32 v56, s41, 13
	v_cmpx_lt_i32_e32 -1, v2
	s_xor_b32 s39, exec_lo, s0
	s_cbranch_execz .LBB6_2900
; %bb.2697:
	v_ashrrev_i32_e32 v2, 31, v1
	v_max_i32_e32 v4, v42, v0
	v_min_i32_e32 v5, v42, v0
	v_add_nc_u32_e32 v0, 1, v1
	v_lshlrev_b32_e32 v40, 1, v1
	v_lshlrev_b64 v[2:3], 3, v[1:2]
	v_lshlrev_b32_e32 v4, 1, v4
	s_mov_b32 s0, s38
	s_mov_b32 s40, exec_lo
	s_delay_alu instid0(VALU_DEP_2) | instskip(NEXT) | instid1(VALU_DEP_3)
	v_add_co_u32 v2, vcc_lo, v44, v2
	v_add_co_ci_u32_e32 v3, vcc_lo, v45, v3, vcc_lo
	s_clause 0x1
	flat_store_b32 v[44:45], v0
	flat_store_b64 v[2:3], v[4:5] offset:8
	v_cmpx_ne_u32_e64 v46, v73
	s_cbranch_execz .LBB6_2899
; %bb.2698:
	s_mov_b64 s[0:1], src_private_base
	s_getpc_b64 s[2:3]
	s_add_u32 s2, s2, _ZN3sop12sopFactorRecEPNS_3SopEiP7VecsMemIjLi8192EEPN8subgUtil4SubgILi256EEE@rel32@lo+4
	s_addc_u32 s3, s3, _ZN3sop12sopFactorRecEPNS_3SopEiP7VecsMemIjLi8192EEPN8subgUtil4SubgILi256EEE@rel32@hi+12
	s_add_i32 s0, s33, 0xa0
	s_delay_alu instid0(SALU_CYCLE_1)
	v_dual_mov_b32 v1, s1 :: v_dual_mov_b32 v0, s0
	v_dual_mov_b32 v2, v41 :: v_dual_mov_b32 v3, v58
	;; [unrolled: 1-line block ×3, first 2 shown]
	v_mov_b32_e32 v6, v45
	s_mov_b64 s[8:9], s[44:45]
	s_swappc_b64 s[30:31], s[2:3]
	flat_load_b32 v1, v[44:45]
	s_mov_b32 s17, s38
	s_mov_b32 s0, exec_lo
	s_waitcnt vmcnt(0) lgkmcnt(0)
	v_cmpx_lt_i32_e32 0xff, v1
	s_xor_b32 s18, exec_lo, s0
	s_cbranch_execz .LBB6_2700
; %bb.2699:
	s_getpc_b64 s[0:1]
	s_add_u32 s0, s0, .str.43@rel32@lo+4
	s_addc_u32 s1, s1, .str.43@rel32@hi+12
	s_getpc_b64 s[2:3]
	s_add_u32 s2, s2, .str.44@rel32@lo+4
	s_addc_u32 s3, s3, .str.44@rel32@hi+12
	s_getpc_b64 s[4:5]
	s_add_u32 s4, s4, __PRETTY_FUNCTION__._ZN8subgUtil4SubgILi256EE9addNodeOrEii@rel32@lo+4
	s_addc_u32 s5, s5, __PRETTY_FUNCTION__._ZN8subgUtil4SubgILi256EE9addNodeOrEii@rel32@hi+12
	v_dual_mov_b32 v0, s0 :: v_dual_mov_b32 v1, s1
	v_dual_mov_b32 v2, s2 :: v_dual_mov_b32 v3, s3
	;; [unrolled: 1-line block ×3, first 2 shown]
	v_mov_b32_e32 v6, s5
	s_mov_b64 s[8:9], s[44:45]
	s_getpc_b64 s[6:7]
	s_add_u32 s6, s6, __assert_fail@rel32@lo+4
	s_addc_u32 s7, s7, __assert_fail@rel32@hi+12
	s_delay_alu instid0(SALU_CYCLE_1)
	s_swappc_b64 s[30:31], s[6:7]
	s_or_b32 s17, s38, exec_lo
                                        ; implicit-def: $vgpr0
                                        ; implicit-def: $vgpr40
                                        ; implicit-def: $vgpr44_vgpr45
.LBB6_2700:
	s_or_saveexec_b32 s18, s18
	s_mov_b32 s1, 0
	s_xor_b32 exec_lo, exec_lo, s18
	s_cbranch_execz .LBB6_2898
; %bb.2701:
	v_min_i32_e32 v37, v40, v0
	v_max_i32_e32 v3, v40, v0
	s_delay_alu instid0(VALU_DEP_2) | instskip(NEXT) | instid1(VALU_DEP_2)
	v_xor_b32_e32 v33, 1, v37
	v_xor_b32_e32 v34, 1, v3
	s_delay_alu instid0(VALU_DEP_1) | instskip(NEXT) | instid1(VALU_DEP_1)
	v_cmp_gt_i32_e64 s0, v33, v34
	s_and_saveexec_b32 s16, s0
	s_cbranch_execz .LBB6_2893
; %bb.2702:
	s_load_b64 s[4:5], s[44:45], 0x50
	v_mbcnt_lo_u32_b32 v36, -1, 0
	v_mov_b32_e32 v1, 0
	v_mov_b32_e32 v2, 0
	s_delay_alu instid0(VALU_DEP_3) | instskip(NEXT) | instid1(VALU_DEP_1)
	v_readfirstlane_b32 s1, v36
	v_cmp_eq_u32_e64 s1, s1, v36
	s_delay_alu instid0(VALU_DEP_1)
	s_and_saveexec_b32 s2, s1
	s_cbranch_execz .LBB6_2708
; %bb.2703:
	v_mov_b32_e32 v4, 0
	s_mov_b32 s3, exec_lo
	s_waitcnt lgkmcnt(0)
	global_load_b64 v[7:8], v4, s[4:5] offset:24 glc
	s_waitcnt vmcnt(0)
	buffer_gl1_inv
	buffer_gl0_inv
	s_clause 0x1
	global_load_b64 v[1:2], v4, s[4:5] offset:40
	global_load_b64 v[5:6], v4, s[4:5]
	s_waitcnt vmcnt(1)
	v_and_b32_e32 v1, v1, v7
	v_and_b32_e32 v2, v2, v8
	s_delay_alu instid0(VALU_DEP_2) | instskip(NEXT) | instid1(VALU_DEP_2)
	v_mul_hi_u32 v9, v1, 24
	v_mul_lo_u32 v2, v2, 24
	v_mul_lo_u32 v1, v1, 24
	s_delay_alu instid0(VALU_DEP_2) | instskip(SKIP_1) | instid1(VALU_DEP_2)
	v_add_nc_u32_e32 v2, v9, v2
	s_waitcnt vmcnt(0)
	v_add_co_u32 v1, vcc_lo, v5, v1
	s_delay_alu instid0(VALU_DEP_2)
	v_add_co_ci_u32_e32 v2, vcc_lo, v6, v2, vcc_lo
	global_load_b64 v[5:6], v[1:2], off glc
	s_waitcnt vmcnt(0)
	global_atomic_cmpswap_b64 v[1:2], v4, v[5:8], s[4:5] offset:24 glc
	s_waitcnt vmcnt(0)
	buffer_gl1_inv
	buffer_gl0_inv
	v_cmpx_ne_u64_e64 v[1:2], v[7:8]
	s_cbranch_execz .LBB6_2707
; %bb.2704:
	s_mov_b32 s6, 0
.LBB6_2705:                             ; =>This Inner Loop Header: Depth=1
	s_sleep 1
	s_clause 0x1
	global_load_b64 v[5:6], v4, s[4:5] offset:40
	global_load_b64 v[9:10], v4, s[4:5]
	v_dual_mov_b32 v8, v2 :: v_dual_mov_b32 v7, v1
	s_waitcnt vmcnt(1)
	s_delay_alu instid0(VALU_DEP_1) | instskip(SKIP_1) | instid1(VALU_DEP_1)
	v_and_b32_e32 v5, v5, v7
	s_waitcnt vmcnt(0)
	v_mad_u64_u32 v[1:2], null, v5, 24, v[9:10]
	v_and_b32_e32 v9, v6, v8
	s_delay_alu instid0(VALU_DEP_1) | instskip(NEXT) | instid1(VALU_DEP_1)
	v_mad_u64_u32 v[5:6], null, v9, 24, v[2:3]
	v_mov_b32_e32 v2, v5
	global_load_b64 v[5:6], v[1:2], off glc
	s_waitcnt vmcnt(0)
	global_atomic_cmpswap_b64 v[1:2], v4, v[5:8], s[4:5] offset:24 glc
	s_waitcnt vmcnt(0)
	buffer_gl1_inv
	buffer_gl0_inv
	v_cmp_eq_u64_e32 vcc_lo, v[1:2], v[7:8]
	s_or_b32 s6, vcc_lo, s6
	s_delay_alu instid0(SALU_CYCLE_1)
	s_and_not1_b32 exec_lo, exec_lo, s6
	s_cbranch_execnz .LBB6_2705
; %bb.2706:
	s_or_b32 exec_lo, exec_lo, s6
.LBB6_2707:
	s_delay_alu instid0(SALU_CYCLE_1)
	s_or_b32 exec_lo, exec_lo, s3
.LBB6_2708:
	s_delay_alu instid0(SALU_CYCLE_1)
	s_or_b32 exec_lo, exec_lo, s2
	v_mov_b32_e32 v9, 0
	v_readfirstlane_b32 s2, v1
	v_readfirstlane_b32 s3, v2
	s_mov_b32 s8, exec_lo
	s_waitcnt lgkmcnt(0)
	s_clause 0x1
	global_load_b64 v[10:11], v9, s[4:5] offset:40
	global_load_b128 v[4:7], v9, s[4:5]
	s_waitcnt vmcnt(1)
	v_readfirstlane_b32 s6, v10
	v_readfirstlane_b32 s7, v11
	s_delay_alu instid0(VALU_DEP_1) | instskip(NEXT) | instid1(SALU_CYCLE_1)
	s_and_b64 s[6:7], s[2:3], s[6:7]
	s_mul_i32 s9, s7, 24
	s_mul_hi_u32 s10, s6, 24
	s_mul_i32 s11, s6, 24
	s_add_i32 s10, s10, s9
	s_waitcnt vmcnt(0)
	v_add_co_u32 v1, vcc_lo, v4, s11
	v_add_co_ci_u32_e32 v2, vcc_lo, s10, v5, vcc_lo
	s_and_saveexec_b32 s9, s1
	s_cbranch_execz .LBB6_2710
; %bb.2709:
	v_dual_mov_b32 v8, s8 :: v_dual_mov_b32 v11, 1
	v_mov_b32_e32 v10, 2
	global_store_b128 v[1:2], v[8:11], off offset:8
.LBB6_2710:
	s_or_b32 exec_lo, exec_lo, s9
	s_lshl_b64 s[6:7], s[6:7], 12
	v_dual_mov_b32 v8, 33 :: v_dual_lshlrev_b32 v35, 6, v36
	v_add_co_u32 v6, vcc_lo, v6, s6
	v_add_co_ci_u32_e32 v7, vcc_lo, s7, v7, vcc_lo
	s_mov_b32 s8, 0
	s_delay_alu instid0(VALU_DEP_2)
	v_add_co_u32 v12, vcc_lo, v6, v35
	s_mov_b32 s11, s8
	s_mov_b32 s9, s8
	;; [unrolled: 1-line block ×3, first 2 shown]
	v_dual_mov_b32 v10, v9 :: v_dual_mov_b32 v17, s11
	v_dual_mov_b32 v11, v9 :: v_dual_mov_b32 v16, s10
	v_readfirstlane_b32 s6, v6
	v_readfirstlane_b32 s7, v7
	v_add_co_ci_u32_e32 v13, vcc_lo, 0, v7, vcc_lo
	v_dual_mov_b32 v15, s9 :: v_dual_mov_b32 v14, s8
	s_clause 0x3
	global_store_b128 v35, v[8:11], s[6:7]
	global_store_b128 v35, v[14:17], s[6:7] offset:16
	global_store_b128 v35, v[14:17], s[6:7] offset:32
	;; [unrolled: 1-line block ×3, first 2 shown]
	s_and_saveexec_b32 s6, s1
	s_cbranch_execz .LBB6_2717
; %bb.2711:
	v_mov_b32_e32 v10, 0
	s_mov_b32 s7, exec_lo
	s_clause 0x1
	global_load_b64 v[16:17], v10, s[4:5] offset:32 glc
	global_load_b64 v[6:7], v10, s[4:5] offset:40
	v_dual_mov_b32 v15, s3 :: v_dual_mov_b32 v14, s2
	s_waitcnt vmcnt(0)
	v_and_b32_e32 v7, s3, v7
	v_and_b32_e32 v6, s2, v6
	s_delay_alu instid0(VALU_DEP_2) | instskip(NEXT) | instid1(VALU_DEP_2)
	v_mul_lo_u32 v7, v7, 24
	v_mul_hi_u32 v8, v6, 24
	v_mul_lo_u32 v6, v6, 24
	s_delay_alu instid0(VALU_DEP_2) | instskip(NEXT) | instid1(VALU_DEP_2)
	v_add_nc_u32_e32 v7, v8, v7
	v_add_co_u32 v8, vcc_lo, v4, v6
	s_delay_alu instid0(VALU_DEP_2)
	v_add_co_ci_u32_e32 v9, vcc_lo, v5, v7, vcc_lo
	global_store_b64 v[8:9], v[16:17], off
	s_waitcnt_vscnt null, 0x0
	global_atomic_cmpswap_b64 v[6:7], v10, v[14:17], s[4:5] offset:32 glc
	s_waitcnt vmcnt(0)
	v_cmpx_ne_u64_e64 v[6:7], v[16:17]
	s_cbranch_execz .LBB6_2713
.LBB6_2712:                             ; =>This Inner Loop Header: Depth=1
	v_dual_mov_b32 v4, s2 :: v_dual_mov_b32 v5, s3
	s_sleep 1
	global_store_b64 v[8:9], v[6:7], off
	s_waitcnt_vscnt null, 0x0
	global_atomic_cmpswap_b64 v[4:5], v10, v[4:7], s[4:5] offset:32 glc
	s_waitcnt vmcnt(0)
	v_cmp_eq_u64_e32 vcc_lo, v[4:5], v[6:7]
	v_dual_mov_b32 v7, v5 :: v_dual_mov_b32 v6, v4
	s_or_b32 s8, vcc_lo, s8
	s_delay_alu instid0(SALU_CYCLE_1)
	s_and_not1_b32 exec_lo, exec_lo, s8
	s_cbranch_execnz .LBB6_2712
.LBB6_2713:
	s_or_b32 exec_lo, exec_lo, s7
	v_mov_b32_e32 v7, 0
	s_mov_b32 s8, exec_lo
	s_mov_b32 s7, exec_lo
	v_mbcnt_lo_u32_b32 v6, s8, 0
	global_load_b64 v[4:5], v7, s[4:5] offset:16
	v_cmpx_eq_u32_e32 0, v6
	s_cbranch_execz .LBB6_2715
; %bb.2714:
	s_bcnt1_i32_b32 s8, s8
	s_delay_alu instid0(SALU_CYCLE_1)
	v_mov_b32_e32 v6, s8
	s_waitcnt vmcnt(0)
	global_atomic_add_u64 v[4:5], v[6:7], off offset:8
.LBB6_2715:
	s_or_b32 exec_lo, exec_lo, s7
	s_waitcnt vmcnt(0)
	global_load_b64 v[6:7], v[4:5], off offset:16
	s_waitcnt vmcnt(0)
	v_cmp_eq_u64_e32 vcc_lo, 0, v[6:7]
	s_cbranch_vccnz .LBB6_2717
; %bb.2716:
	global_load_b32 v4, v[4:5], off offset:24
	s_waitcnt vmcnt(0)
	v_dual_mov_b32 v5, 0 :: v_dual_and_b32 v8, 0xffffff, v4
	s_waitcnt_vscnt null, 0x0
	global_store_b64 v[6:7], v[4:5], off
	v_readfirstlane_b32 m0, v8
	s_sendmsg sendmsg(MSG_INTERRUPT)
.LBB6_2717:
	s_or_b32 exec_lo, exec_lo, s6
	s_branch .LBB6_2719
.LBB6_2718:
	s_branch .LBB6_2723
.LBB6_2719:                             ; =>This Inner Loop Header: Depth=1
	v_mov_b32_e32 v4, 1
	s_and_saveexec_b32 s6, s1
	s_cbranch_execz .LBB6_2721
; %bb.2720:                             ;   in Loop: Header=BB6_2719 Depth=1
	global_load_b32 v4, v[1:2], off offset:20 glc
	s_waitcnt vmcnt(0)
	buffer_gl1_inv
	buffer_gl0_inv
	v_and_b32_e32 v4, 1, v4
.LBB6_2721:                             ;   in Loop: Header=BB6_2719 Depth=1
	s_or_b32 exec_lo, exec_lo, s6
	s_delay_alu instid0(VALU_DEP_1) | instskip(NEXT) | instid1(VALU_DEP_1)
	v_readfirstlane_b32 s6, v4
	s_cmp_eq_u32 s6, 0
	s_cbranch_scc1 .LBB6_2718
; %bb.2722:                             ;   in Loop: Header=BB6_2719 Depth=1
	s_sleep 1
	s_cbranch_execnz .LBB6_2719
.LBB6_2723:
	global_load_b64 v[4:5], v[12:13], off
	s_and_saveexec_b32 s6, s1
	s_cbranch_execz .LBB6_2727
; %bb.2724:
	v_mov_b32_e32 v10, 0
	s_clause 0x2
	global_load_b64 v[1:2], v10, s[4:5] offset:40
	global_load_b64 v[11:12], v10, s[4:5] offset:24 glc
	global_load_b64 v[8:9], v10, s[4:5]
	s_waitcnt vmcnt(2)
	v_add_co_u32 v13, vcc_lo, v1, 1
	v_add_co_ci_u32_e32 v14, vcc_lo, 0, v2, vcc_lo
	s_delay_alu instid0(VALU_DEP_2) | instskip(NEXT) | instid1(VALU_DEP_2)
	v_add_co_u32 v6, vcc_lo, v13, s2
	v_add_co_ci_u32_e32 v7, vcc_lo, s3, v14, vcc_lo
	s_delay_alu instid0(VALU_DEP_1) | instskip(SKIP_1) | instid1(VALU_DEP_1)
	v_cmp_eq_u64_e32 vcc_lo, 0, v[6:7]
	v_dual_cndmask_b32 v7, v7, v14 :: v_dual_cndmask_b32 v6, v6, v13
	v_and_b32_e32 v2, v7, v2
	s_delay_alu instid0(VALU_DEP_2) | instskip(NEXT) | instid1(VALU_DEP_2)
	v_and_b32_e32 v1, v6, v1
	v_mul_lo_u32 v2, v2, 24
	s_delay_alu instid0(VALU_DEP_2) | instskip(SKIP_1) | instid1(VALU_DEP_2)
	v_mul_hi_u32 v13, v1, 24
	v_mul_lo_u32 v1, v1, 24
	v_add_nc_u32_e32 v2, v13, v2
	s_waitcnt vmcnt(0)
	s_delay_alu instid0(VALU_DEP_2) | instskip(SKIP_1) | instid1(VALU_DEP_3)
	v_add_co_u32 v1, vcc_lo, v8, v1
	v_mov_b32_e32 v8, v11
	v_add_co_ci_u32_e32 v2, vcc_lo, v9, v2, vcc_lo
	v_mov_b32_e32 v9, v12
	global_store_b64 v[1:2], v[11:12], off
	s_waitcnt_vscnt null, 0x0
	global_atomic_cmpswap_b64 v[8:9], v10, v[6:9], s[4:5] offset:24 glc
	s_waitcnt vmcnt(0)
	v_cmp_ne_u64_e32 vcc_lo, v[8:9], v[11:12]
	s_and_b32 exec_lo, exec_lo, vcc_lo
	s_cbranch_execz .LBB6_2727
; %bb.2725:
	s_mov_b32 s1, 0
.LBB6_2726:                             ; =>This Inner Loop Header: Depth=1
	s_sleep 1
	global_store_b64 v[1:2], v[8:9], off
	s_waitcnt_vscnt null, 0x0
	global_atomic_cmpswap_b64 v[11:12], v10, v[6:9], s[4:5] offset:24 glc
	s_waitcnt vmcnt(0)
	v_cmp_eq_u64_e32 vcc_lo, v[11:12], v[8:9]
	v_dual_mov_b32 v8, v11 :: v_dual_mov_b32 v9, v12
	s_or_b32 s1, vcc_lo, s1
	s_delay_alu instid0(SALU_CYCLE_1)
	s_and_not1_b32 exec_lo, exec_lo, s1
	s_cbranch_execnz .LBB6_2726
.LBB6_2727:
	s_or_b32 exec_lo, exec_lo, s6
	s_getpc_b64 s[6:7]
	s_add_u32 s6, s6, .str.45@rel32@lo+4
	s_addc_u32 s7, s7, .str.45@rel32@hi+12
	s_delay_alu instid0(SALU_CYCLE_1)
	s_cmp_lg_u64 s[6:7], 0
	s_cbranch_scc0 .LBB6_2812
; %bb.2728:
	s_waitcnt vmcnt(0)
	v_dual_mov_b32 v7, v5 :: v_dual_and_b32 v38, 2, v4
	v_dual_mov_b32 v10, 0 :: v_dual_mov_b32 v11, 2
	v_and_b32_e32 v6, -3, v4
	v_mov_b32_e32 v12, 1
	s_mov_b64 s[8:9], 7
	s_branch .LBB6_2730
.LBB6_2729:                             ;   in Loop: Header=BB6_2730 Depth=1
	s_or_b32 exec_lo, exec_lo, s2
	s_sub_u32 s8, s8, s10
	s_subb_u32 s9, s9, s11
	s_add_u32 s6, s6, s10
	s_addc_u32 s7, s7, s11
	s_cmp_lg_u64 s[8:9], 0
	s_cbranch_scc0 .LBB6_2811
.LBB6_2730:                             ; =>This Loop Header: Depth=1
                                        ;     Child Loop BB6_2733 Depth 2
                                        ;     Child Loop BB6_2738 Depth 2
	;; [unrolled: 1-line block ×11, first 2 shown]
	v_cmp_lt_u64_e64 s1, s[8:9], 56
	v_cmp_gt_u64_e64 s2, s[8:9], 7
                                        ; implicit-def: $vgpr15_vgpr16
	s_delay_alu instid0(VALU_DEP_2) | instskip(SKIP_2) | instid1(VALU_DEP_1)
	s_and_b32 s1, s1, exec_lo
	s_cselect_b32 s11, s9, 0
	s_cselect_b32 s10, s8, 56
	s_and_b32 vcc_lo, exec_lo, s2
	s_mov_b32 s2, -1
                                        ; implicit-def: $sgpr1
	s_cbranch_vccnz .LBB6_2740
; %bb.2731:                             ;   in Loop: Header=BB6_2730 Depth=1
	v_mov_b32_e32 v15, 0
	v_mov_b32_e32 v16, 0
	s_cmp_eq_u64 s[8:9], 0
	s_mov_b64 s[2:3], 0
	s_cbranch_scc1 .LBB6_2734
; %bb.2732:                             ;   in Loop: Header=BB6_2730 Depth=1
	v_mov_b32_e32 v15, 0
	v_mov_b32_e32 v16, 0
	s_lshl_b64 s[12:13], s[10:11], 3
	s_mov_b64 s[14:15], s[6:7]
.LBB6_2733:                             ;   Parent Loop BB6_2730 Depth=1
                                        ; =>  This Inner Loop Header: Depth=2
	global_load_u8 v1, v10, s[14:15]
	s_waitcnt vmcnt(0)
	v_and_b32_e32 v9, 0xffff, v1
	s_delay_alu instid0(VALU_DEP_1)
	v_lshlrev_b64 v[1:2], s2, v[9:10]
	s_add_u32 s2, s2, 8
	s_addc_u32 s3, s3, 0
	s_add_u32 s14, s14, 1
	s_addc_u32 s15, s15, 0
	s_cmp_lg_u32 s12, s2
	v_or_b32_e32 v15, v1, v15
	v_or_b32_e32 v16, v2, v16
	s_cbranch_scc1 .LBB6_2733
.LBB6_2734:                             ;   in Loop: Header=BB6_2730 Depth=1
	s_mov_b32 s1, 0
	s_mov_b64 s[2:3], s[6:7]
	s_cbranch_execz .LBB6_2741
.LBB6_2735:                             ;   in Loop: Header=BB6_2730 Depth=1
	s_cmp_gt_u32 s1, 7
	s_cbranch_scc1 .LBB6_2742
.LBB6_2736:                             ;   in Loop: Header=BB6_2730 Depth=1
	v_mov_b32_e32 v17, 0
	v_mov_b32_e32 v18, 0
	s_cmp_eq_u32 s1, 0
	s_cbranch_scc1 .LBB6_2739
; %bb.2737:                             ;   in Loop: Header=BB6_2730 Depth=1
	s_mov_b64 s[12:13], 0
	s_mov_b64 s[14:15], 0
.LBB6_2738:                             ;   Parent Loop BB6_2730 Depth=1
                                        ; =>  This Inner Loop Header: Depth=2
	s_delay_alu instid0(SALU_CYCLE_1)
	s_add_u32 s20, s2, s14
	s_addc_u32 s21, s3, s15
	s_add_u32 s14, s14, 1
	global_load_u8 v1, v10, s[20:21]
	s_addc_u32 s15, s15, 0
	s_waitcnt vmcnt(0)
	v_and_b32_e32 v9, 0xffff, v1
	s_delay_alu instid0(VALU_DEP_1) | instskip(SKIP_3) | instid1(VALU_DEP_1)
	v_lshlrev_b64 v[1:2], s12, v[9:10]
	s_add_u32 s12, s12, 8
	s_addc_u32 s13, s13, 0
	s_cmp_lg_u32 s1, s14
	v_or_b32_e32 v17, v1, v17
	s_delay_alu instid0(VALU_DEP_2)
	v_or_b32_e32 v18, v2, v18
	s_cbranch_scc1 .LBB6_2738
.LBB6_2739:                             ;   in Loop: Header=BB6_2730 Depth=1
	s_mov_b32 s12, 0
	s_mov_b32 s19, 0
	s_branch .LBB6_2743
.LBB6_2740:                             ;   in Loop: Header=BB6_2730 Depth=1
	s_and_not1_b32 vcc_lo, exec_lo, s2
	s_mov_b64 s[2:3], s[6:7]
	s_cbranch_vccnz .LBB6_2735
.LBB6_2741:                             ;   in Loop: Header=BB6_2730 Depth=1
	global_load_b64 v[15:16], v10, s[6:7]
	s_add_i32 s1, s10, -8
	s_add_u32 s2, s6, 8
	s_addc_u32 s3, s7, 0
	s_cmp_gt_u32 s1, 7
	s_cbranch_scc0 .LBB6_2736
.LBB6_2742:                             ;   in Loop: Header=BB6_2730 Depth=1
	s_mov_b32 s12, -1
                                        ; implicit-def: $vgpr17_vgpr18
                                        ; implicit-def: $sgpr19
.LBB6_2743:                             ;   in Loop: Header=BB6_2730 Depth=1
	s_delay_alu instid0(SALU_CYCLE_1)
	s_and_not1_b32 vcc_lo, exec_lo, s12
	s_cbranch_vccnz .LBB6_2745
; %bb.2744:                             ;   in Loop: Header=BB6_2730 Depth=1
	global_load_b64 v[17:18], v10, s[2:3]
	s_add_i32 s19, s1, -8
	s_add_u32 s2, s2, 8
	s_addc_u32 s3, s3, 0
.LBB6_2745:                             ;   in Loop: Header=BB6_2730 Depth=1
	s_cmp_gt_u32 s19, 7
	s_cbranch_scc1 .LBB6_2750
; %bb.2746:                             ;   in Loop: Header=BB6_2730 Depth=1
	v_mov_b32_e32 v19, 0
	v_mov_b32_e32 v20, 0
	s_cmp_eq_u32 s19, 0
	s_cbranch_scc1 .LBB6_2749
; %bb.2747:                             ;   in Loop: Header=BB6_2730 Depth=1
	s_mov_b64 s[12:13], 0
	s_mov_b64 s[14:15], 0
.LBB6_2748:                             ;   Parent Loop BB6_2730 Depth=1
                                        ; =>  This Inner Loop Header: Depth=2
	s_delay_alu instid0(SALU_CYCLE_1)
	s_add_u32 s20, s2, s14
	s_addc_u32 s21, s3, s15
	s_add_u32 s14, s14, 1
	global_load_u8 v1, v10, s[20:21]
	s_addc_u32 s15, s15, 0
	s_waitcnt vmcnt(0)
	v_and_b32_e32 v9, 0xffff, v1
	s_delay_alu instid0(VALU_DEP_1) | instskip(SKIP_3) | instid1(VALU_DEP_1)
	v_lshlrev_b64 v[1:2], s12, v[9:10]
	s_add_u32 s12, s12, 8
	s_addc_u32 s13, s13, 0
	s_cmp_lg_u32 s19, s14
	v_or_b32_e32 v19, v1, v19
	s_delay_alu instid0(VALU_DEP_2)
	v_or_b32_e32 v20, v2, v20
	s_cbranch_scc1 .LBB6_2748
.LBB6_2749:                             ;   in Loop: Header=BB6_2730 Depth=1
	s_mov_b32 s12, 0
	s_mov_b32 s1, 0
	s_branch .LBB6_2751
.LBB6_2750:                             ;   in Loop: Header=BB6_2730 Depth=1
	s_mov_b32 s12, -1
                                        ; implicit-def: $sgpr1
.LBB6_2751:                             ;   in Loop: Header=BB6_2730 Depth=1
	s_delay_alu instid0(SALU_CYCLE_1)
	s_and_not1_b32 vcc_lo, exec_lo, s12
	s_cbranch_vccnz .LBB6_2753
; %bb.2752:                             ;   in Loop: Header=BB6_2730 Depth=1
	global_load_b64 v[19:20], v10, s[2:3]
	s_add_i32 s1, s19, -8
	s_add_u32 s2, s2, 8
	s_addc_u32 s3, s3, 0
.LBB6_2753:                             ;   in Loop: Header=BB6_2730 Depth=1
	s_cmp_gt_u32 s1, 7
	s_cbranch_scc1 .LBB6_2758
; %bb.2754:                             ;   in Loop: Header=BB6_2730 Depth=1
	v_mov_b32_e32 v21, 0
	v_mov_b32_e32 v22, 0
	s_cmp_eq_u32 s1, 0
	s_cbranch_scc1 .LBB6_2757
; %bb.2755:                             ;   in Loop: Header=BB6_2730 Depth=1
	s_mov_b64 s[12:13], 0
	s_mov_b64 s[14:15], 0
.LBB6_2756:                             ;   Parent Loop BB6_2730 Depth=1
                                        ; =>  This Inner Loop Header: Depth=2
	s_delay_alu instid0(SALU_CYCLE_1)
	s_add_u32 s20, s2, s14
	s_addc_u32 s21, s3, s15
	s_add_u32 s14, s14, 1
	global_load_u8 v1, v10, s[20:21]
	s_addc_u32 s15, s15, 0
	s_waitcnt vmcnt(0)
	v_and_b32_e32 v9, 0xffff, v1
	s_delay_alu instid0(VALU_DEP_1) | instskip(SKIP_3) | instid1(VALU_DEP_1)
	v_lshlrev_b64 v[1:2], s12, v[9:10]
	s_add_u32 s12, s12, 8
	s_addc_u32 s13, s13, 0
	s_cmp_lg_u32 s1, s14
	v_or_b32_e32 v21, v1, v21
	s_delay_alu instid0(VALU_DEP_2)
	v_or_b32_e32 v22, v2, v22
	s_cbranch_scc1 .LBB6_2756
.LBB6_2757:                             ;   in Loop: Header=BB6_2730 Depth=1
	s_mov_b32 s12, 0
	s_mov_b32 s19, 0
	s_branch .LBB6_2759
.LBB6_2758:                             ;   in Loop: Header=BB6_2730 Depth=1
	s_mov_b32 s12, -1
                                        ; implicit-def: $vgpr21_vgpr22
                                        ; implicit-def: $sgpr19
.LBB6_2759:                             ;   in Loop: Header=BB6_2730 Depth=1
	s_delay_alu instid0(SALU_CYCLE_1)
	s_and_not1_b32 vcc_lo, exec_lo, s12
	s_cbranch_vccnz .LBB6_2761
; %bb.2760:                             ;   in Loop: Header=BB6_2730 Depth=1
	global_load_b64 v[21:22], v10, s[2:3]
	s_add_i32 s19, s1, -8
	s_add_u32 s2, s2, 8
	s_addc_u32 s3, s3, 0
.LBB6_2761:                             ;   in Loop: Header=BB6_2730 Depth=1
	s_cmp_gt_u32 s19, 7
	s_cbranch_scc1 .LBB6_2766
; %bb.2762:                             ;   in Loop: Header=BB6_2730 Depth=1
	v_mov_b32_e32 v23, 0
	v_mov_b32_e32 v24, 0
	s_cmp_eq_u32 s19, 0
	s_cbranch_scc1 .LBB6_2765
; %bb.2763:                             ;   in Loop: Header=BB6_2730 Depth=1
	s_mov_b64 s[12:13], 0
	s_mov_b64 s[14:15], 0
.LBB6_2764:                             ;   Parent Loop BB6_2730 Depth=1
                                        ; =>  This Inner Loop Header: Depth=2
	s_delay_alu instid0(SALU_CYCLE_1)
	s_add_u32 s20, s2, s14
	s_addc_u32 s21, s3, s15
	s_add_u32 s14, s14, 1
	global_load_u8 v1, v10, s[20:21]
	s_addc_u32 s15, s15, 0
	s_waitcnt vmcnt(0)
	v_and_b32_e32 v9, 0xffff, v1
	s_delay_alu instid0(VALU_DEP_1) | instskip(SKIP_3) | instid1(VALU_DEP_1)
	v_lshlrev_b64 v[1:2], s12, v[9:10]
	s_add_u32 s12, s12, 8
	s_addc_u32 s13, s13, 0
	s_cmp_lg_u32 s19, s14
	v_or_b32_e32 v23, v1, v23
	s_delay_alu instid0(VALU_DEP_2)
	v_or_b32_e32 v24, v2, v24
	s_cbranch_scc1 .LBB6_2764
.LBB6_2765:                             ;   in Loop: Header=BB6_2730 Depth=1
	s_mov_b32 s12, 0
	s_mov_b32 s1, 0
	s_branch .LBB6_2767
.LBB6_2766:                             ;   in Loop: Header=BB6_2730 Depth=1
	s_mov_b32 s12, -1
                                        ; implicit-def: $sgpr1
.LBB6_2767:                             ;   in Loop: Header=BB6_2730 Depth=1
	s_delay_alu instid0(SALU_CYCLE_1)
	s_and_not1_b32 vcc_lo, exec_lo, s12
	s_cbranch_vccnz .LBB6_2769
; %bb.2768:                             ;   in Loop: Header=BB6_2730 Depth=1
	global_load_b64 v[23:24], v10, s[2:3]
	s_add_i32 s1, s19, -8
	s_add_u32 s2, s2, 8
	s_addc_u32 s3, s3, 0
.LBB6_2769:                             ;   in Loop: Header=BB6_2730 Depth=1
	s_cmp_gt_u32 s1, 7
	s_cbranch_scc1 .LBB6_2774
; %bb.2770:                             ;   in Loop: Header=BB6_2730 Depth=1
	v_mov_b32_e32 v25, 0
	v_mov_b32_e32 v26, 0
	s_cmp_eq_u32 s1, 0
	s_cbranch_scc1 .LBB6_2773
; %bb.2771:                             ;   in Loop: Header=BB6_2730 Depth=1
	s_mov_b64 s[12:13], 0
	s_mov_b64 s[14:15], 0
.LBB6_2772:                             ;   Parent Loop BB6_2730 Depth=1
                                        ; =>  This Inner Loop Header: Depth=2
	s_delay_alu instid0(SALU_CYCLE_1)
	s_add_u32 s20, s2, s14
	s_addc_u32 s21, s3, s15
	s_add_u32 s14, s14, 1
	global_load_u8 v1, v10, s[20:21]
	s_addc_u32 s15, s15, 0
	s_waitcnt vmcnt(0)
	v_and_b32_e32 v9, 0xffff, v1
	s_delay_alu instid0(VALU_DEP_1) | instskip(SKIP_3) | instid1(VALU_DEP_1)
	v_lshlrev_b64 v[1:2], s12, v[9:10]
	s_add_u32 s12, s12, 8
	s_addc_u32 s13, s13, 0
	s_cmp_lg_u32 s1, s14
	v_or_b32_e32 v25, v1, v25
	s_delay_alu instid0(VALU_DEP_2)
	v_or_b32_e32 v26, v2, v26
	s_cbranch_scc1 .LBB6_2772
.LBB6_2773:                             ;   in Loop: Header=BB6_2730 Depth=1
	s_mov_b32 s12, 0
	s_mov_b32 s19, 0
	s_branch .LBB6_2775
.LBB6_2774:                             ;   in Loop: Header=BB6_2730 Depth=1
	s_mov_b32 s12, -1
                                        ; implicit-def: $vgpr25_vgpr26
                                        ; implicit-def: $sgpr19
.LBB6_2775:                             ;   in Loop: Header=BB6_2730 Depth=1
	s_delay_alu instid0(SALU_CYCLE_1)
	s_and_not1_b32 vcc_lo, exec_lo, s12
	s_cbranch_vccnz .LBB6_2777
; %bb.2776:                             ;   in Loop: Header=BB6_2730 Depth=1
	global_load_b64 v[25:26], v10, s[2:3]
	s_add_i32 s19, s1, -8
	s_add_u32 s2, s2, 8
	s_addc_u32 s3, s3, 0
.LBB6_2777:                             ;   in Loop: Header=BB6_2730 Depth=1
	s_cmp_gt_u32 s19, 7
	s_cbranch_scc1 .LBB6_2782
; %bb.2778:                             ;   in Loop: Header=BB6_2730 Depth=1
	v_mov_b32_e32 v27, 0
	v_mov_b32_e32 v28, 0
	s_cmp_eq_u32 s19, 0
	s_cbranch_scc1 .LBB6_2781
; %bb.2779:                             ;   in Loop: Header=BB6_2730 Depth=1
	s_mov_b64 s[12:13], 0
	s_mov_b64 s[14:15], s[2:3]
.LBB6_2780:                             ;   Parent Loop BB6_2730 Depth=1
                                        ; =>  This Inner Loop Header: Depth=2
	global_load_u8 v1, v10, s[14:15]
	s_add_i32 s19, s19, -1
	s_waitcnt vmcnt(0)
	v_and_b32_e32 v9, 0xffff, v1
	s_delay_alu instid0(VALU_DEP_1)
	v_lshlrev_b64 v[1:2], s12, v[9:10]
	s_add_u32 s12, s12, 8
	s_addc_u32 s13, s13, 0
	s_add_u32 s14, s14, 1
	s_addc_u32 s15, s15, 0
	s_cmp_lg_u32 s19, 0
	v_or_b32_e32 v27, v1, v27
	v_or_b32_e32 v28, v2, v28
	s_cbranch_scc1 .LBB6_2780
.LBB6_2781:                             ;   in Loop: Header=BB6_2730 Depth=1
	s_mov_b32 s1, 0
	s_branch .LBB6_2783
.LBB6_2782:                             ;   in Loop: Header=BB6_2730 Depth=1
	s_mov_b32 s1, -1
.LBB6_2783:                             ;   in Loop: Header=BB6_2730 Depth=1
	s_delay_alu instid0(SALU_CYCLE_1)
	s_and_not1_b32 vcc_lo, exec_lo, s1
	s_cbranch_vccnz .LBB6_2785
; %bb.2784:                             ;   in Loop: Header=BB6_2730 Depth=1
	global_load_b64 v[27:28], v10, s[2:3]
.LBB6_2785:                             ;   in Loop: Header=BB6_2730 Depth=1
	v_readfirstlane_b32 s1, v36
	v_mov_b32_e32 v1, 0
	v_mov_b32_e32 v2, 0
	s_delay_alu instid0(VALU_DEP_3) | instskip(NEXT) | instid1(VALU_DEP_1)
	v_cmp_eq_u32_e64 s1, s1, v36
	s_and_saveexec_b32 s2, s1
	s_cbranch_execz .LBB6_2791
; %bb.2786:                             ;   in Loop: Header=BB6_2730 Depth=1
	global_load_b64 v[31:32], v10, s[4:5] offset:24 glc
	s_waitcnt vmcnt(0)
	buffer_gl1_inv
	buffer_gl0_inv
	s_clause 0x1
	global_load_b64 v[1:2], v10, s[4:5] offset:40
	global_load_b64 v[8:9], v10, s[4:5]
	s_mov_b32 s3, exec_lo
	s_waitcnt vmcnt(1)
	v_and_b32_e32 v2, v2, v32
	v_and_b32_e32 v1, v1, v31
	s_delay_alu instid0(VALU_DEP_2) | instskip(NEXT) | instid1(VALU_DEP_2)
	v_mul_lo_u32 v2, v2, 24
	v_mul_hi_u32 v13, v1, 24
	v_mul_lo_u32 v1, v1, 24
	s_delay_alu instid0(VALU_DEP_2) | instskip(SKIP_1) | instid1(VALU_DEP_2)
	v_add_nc_u32_e32 v2, v13, v2
	s_waitcnt vmcnt(0)
	v_add_co_u32 v1, vcc_lo, v8, v1
	s_delay_alu instid0(VALU_DEP_2)
	v_add_co_ci_u32_e32 v2, vcc_lo, v9, v2, vcc_lo
	global_load_b64 v[29:30], v[1:2], off glc
	s_waitcnt vmcnt(0)
	global_atomic_cmpswap_b64 v[1:2], v10, v[29:32], s[4:5] offset:24 glc
	s_waitcnt vmcnt(0)
	buffer_gl1_inv
	buffer_gl0_inv
	v_cmpx_ne_u64_e64 v[1:2], v[31:32]
	s_cbranch_execz .LBB6_2790
; %bb.2787:                             ;   in Loop: Header=BB6_2730 Depth=1
	s_mov_b32 s12, 0
.LBB6_2788:                             ;   Parent Loop BB6_2730 Depth=1
                                        ; =>  This Inner Loop Header: Depth=2
	s_sleep 1
	s_clause 0x1
	global_load_b64 v[8:9], v10, s[4:5] offset:40
	global_load_b64 v[13:14], v10, s[4:5]
	v_dual_mov_b32 v32, v2 :: v_dual_mov_b32 v31, v1
	s_waitcnt vmcnt(1)
	s_delay_alu instid0(VALU_DEP_1) | instskip(SKIP_1) | instid1(VALU_DEP_1)
	v_and_b32_e32 v8, v8, v31
	s_waitcnt vmcnt(0)
	v_mad_u64_u32 v[1:2], null, v8, 24, v[13:14]
	v_and_b32_e32 v13, v9, v32
	s_delay_alu instid0(VALU_DEP_1) | instskip(NEXT) | instid1(VALU_DEP_1)
	v_mad_u64_u32 v[8:9], null, v13, 24, v[2:3]
	v_mov_b32_e32 v2, v8
	global_load_b64 v[29:30], v[1:2], off glc
	s_waitcnt vmcnt(0)
	global_atomic_cmpswap_b64 v[1:2], v10, v[29:32], s[4:5] offset:24 glc
	s_waitcnt vmcnt(0)
	buffer_gl1_inv
	buffer_gl0_inv
	v_cmp_eq_u64_e32 vcc_lo, v[1:2], v[31:32]
	s_or_b32 s12, vcc_lo, s12
	s_delay_alu instid0(SALU_CYCLE_1)
	s_and_not1_b32 exec_lo, exec_lo, s12
	s_cbranch_execnz .LBB6_2788
; %bb.2789:                             ;   in Loop: Header=BB6_2730 Depth=1
	s_or_b32 exec_lo, exec_lo, s12
.LBB6_2790:                             ;   in Loop: Header=BB6_2730 Depth=1
	s_delay_alu instid0(SALU_CYCLE_1)
	s_or_b32 exec_lo, exec_lo, s3
.LBB6_2791:                             ;   in Loop: Header=BB6_2730 Depth=1
	s_delay_alu instid0(SALU_CYCLE_1)
	s_or_b32 exec_lo, exec_lo, s2
	s_clause 0x1
	global_load_b64 v[8:9], v10, s[4:5] offset:40
	global_load_b128 v[29:32], v10, s[4:5]
	v_readfirstlane_b32 s12, v1
	v_readfirstlane_b32 s13, v2
	s_mov_b32 s14, exec_lo
	s_waitcnt vmcnt(1)
	v_readfirstlane_b32 s2, v8
	v_readfirstlane_b32 s3, v9
	s_delay_alu instid0(VALU_DEP_1) | instskip(NEXT) | instid1(SALU_CYCLE_1)
	s_and_b64 s[2:3], s[12:13], s[2:3]
	s_mul_i32 s15, s3, 24
	s_mul_hi_u32 s19, s2, 24
	s_mul_i32 s20, s2, 24
	s_add_i32 s19, s19, s15
	s_waitcnt vmcnt(0)
	v_add_co_u32 v1, vcc_lo, v29, s20
	v_add_co_ci_u32_e32 v2, vcc_lo, s19, v30, vcc_lo
	s_and_saveexec_b32 s15, s1
	s_cbranch_execz .LBB6_2793
; %bb.2792:                             ;   in Loop: Header=BB6_2730 Depth=1
	v_mov_b32_e32 v9, s14
	global_store_b128 v[1:2], v[9:12], off offset:8
.LBB6_2793:                             ;   in Loop: Header=BB6_2730 Depth=1
	s_or_b32 exec_lo, exec_lo, s15
	s_lshl_b64 s[2:3], s[2:3], 12
	v_cmp_gt_u64_e64 vcc_lo, s[8:9], 56
	v_or_b32_e32 v9, v6, v38
	v_add_co_u32 v31, s2, v31, s2
	s_delay_alu instid0(VALU_DEP_1)
	v_add_co_ci_u32_e64 v32, s2, s3, v32, s2
	s_lshl_b32 s2, s10, 2
	v_or_b32_e32 v8, 0, v7
	v_cndmask_b32_e32 v6, v9, v6, vcc_lo
	s_add_i32 s2, s2, 28
	v_readfirstlane_b32 s3, v32
	s_and_b32 s14, s2, 0x1e0
	v_cndmask_b32_e32 v14, v8, v7, vcc_lo
	v_readfirstlane_b32 s2, v31
	v_and_or_b32 v13, 0xffffff1f, v6, s14
	s_clause 0x3
	global_store_b128 v35, v[13:16], s[2:3]
	global_store_b128 v35, v[17:20], s[2:3] offset:16
	global_store_b128 v35, v[21:24], s[2:3] offset:32
	;; [unrolled: 1-line block ×3, first 2 shown]
	s_and_saveexec_b32 s2, s1
	s_cbranch_execz .LBB6_2801
; %bb.2794:                             ;   in Loop: Header=BB6_2730 Depth=1
	s_clause 0x1
	global_load_b64 v[17:18], v10, s[4:5] offset:32 glc
	global_load_b64 v[6:7], v10, s[4:5] offset:40
	v_dual_mov_b32 v15, s12 :: v_dual_mov_b32 v16, s13
	s_waitcnt vmcnt(0)
	v_readfirstlane_b32 s14, v6
	v_readfirstlane_b32 s15, v7
	s_delay_alu instid0(VALU_DEP_1) | instskip(NEXT) | instid1(SALU_CYCLE_1)
	s_and_b64 s[14:15], s[14:15], s[12:13]
	s_mul_i32 s3, s15, 24
	s_mul_hi_u32 s15, s14, 24
	s_mul_i32 s14, s14, 24
	s_add_i32 s15, s15, s3
	v_add_co_u32 v13, vcc_lo, v29, s14
	v_add_co_ci_u32_e32 v14, vcc_lo, s15, v30, vcc_lo
	s_mov_b32 s3, exec_lo
	global_store_b64 v[13:14], v[17:18], off
	s_waitcnt_vscnt null, 0x0
	global_atomic_cmpswap_b64 v[8:9], v10, v[15:18], s[4:5] offset:32 glc
	s_waitcnt vmcnt(0)
	v_cmpx_ne_u64_e64 v[8:9], v[17:18]
	s_cbranch_execz .LBB6_2797
; %bb.2795:                             ;   in Loop: Header=BB6_2730 Depth=1
	s_mov_b32 s14, 0
.LBB6_2796:                             ;   Parent Loop BB6_2730 Depth=1
                                        ; =>  This Inner Loop Header: Depth=2
	v_dual_mov_b32 v6, s12 :: v_dual_mov_b32 v7, s13
	s_sleep 1
	global_store_b64 v[13:14], v[8:9], off
	s_waitcnt_vscnt null, 0x0
	global_atomic_cmpswap_b64 v[6:7], v10, v[6:9], s[4:5] offset:32 glc
	s_waitcnt vmcnt(0)
	v_cmp_eq_u64_e32 vcc_lo, v[6:7], v[8:9]
	v_dual_mov_b32 v9, v7 :: v_dual_mov_b32 v8, v6
	s_or_b32 s14, vcc_lo, s14
	s_delay_alu instid0(SALU_CYCLE_1)
	s_and_not1_b32 exec_lo, exec_lo, s14
	s_cbranch_execnz .LBB6_2796
.LBB6_2797:                             ;   in Loop: Header=BB6_2730 Depth=1
	s_or_b32 exec_lo, exec_lo, s3
	global_load_b64 v[6:7], v10, s[4:5] offset:16
	s_mov_b32 s14, exec_lo
	s_mov_b32 s3, exec_lo
	v_mbcnt_lo_u32_b32 v8, s14, 0
	s_delay_alu instid0(VALU_DEP_1)
	v_cmpx_eq_u32_e32 0, v8
	s_cbranch_execz .LBB6_2799
; %bb.2798:                             ;   in Loop: Header=BB6_2730 Depth=1
	s_bcnt1_i32_b32 s14, s14
	s_delay_alu instid0(SALU_CYCLE_1)
	v_mov_b32_e32 v9, s14
	s_waitcnt vmcnt(0)
	global_atomic_add_u64 v[6:7], v[9:10], off offset:8
.LBB6_2799:                             ;   in Loop: Header=BB6_2730 Depth=1
	s_or_b32 exec_lo, exec_lo, s3
	s_waitcnt vmcnt(0)
	global_load_b64 v[13:14], v[6:7], off offset:16
	s_waitcnt vmcnt(0)
	v_cmp_eq_u64_e32 vcc_lo, 0, v[13:14]
	s_cbranch_vccnz .LBB6_2801
; %bb.2800:                             ;   in Loop: Header=BB6_2730 Depth=1
	global_load_b32 v9, v[6:7], off offset:24
	s_waitcnt vmcnt(0)
	v_and_b32_e32 v6, 0xffffff, v9
	s_waitcnt_vscnt null, 0x0
	global_store_b64 v[13:14], v[9:10], off
	v_readfirstlane_b32 m0, v6
	s_sendmsg sendmsg(MSG_INTERRUPT)
.LBB6_2801:                             ;   in Loop: Header=BB6_2730 Depth=1
	s_or_b32 exec_lo, exec_lo, s2
	v_add_co_u32 v6, vcc_lo, v31, v35
	v_add_co_ci_u32_e32 v7, vcc_lo, 0, v32, vcc_lo
	s_branch .LBB6_2803
.LBB6_2802:                             ;   in Loop: Header=BB6_2730 Depth=1
	s_branch .LBB6_2807
.LBB6_2803:                             ;   Parent Loop BB6_2730 Depth=1
                                        ; =>  This Inner Loop Header: Depth=2
	v_mov_b32_e32 v8, 1
	s_and_saveexec_b32 s2, s1
	s_cbranch_execz .LBB6_2805
; %bb.2804:                             ;   in Loop: Header=BB6_2803 Depth=2
	global_load_b32 v8, v[1:2], off offset:20 glc
	s_waitcnt vmcnt(0)
	buffer_gl1_inv
	buffer_gl0_inv
	v_and_b32_e32 v8, 1, v8
.LBB6_2805:                             ;   in Loop: Header=BB6_2803 Depth=2
	s_or_b32 exec_lo, exec_lo, s2
	s_delay_alu instid0(VALU_DEP_1) | instskip(NEXT) | instid1(VALU_DEP_1)
	v_readfirstlane_b32 s2, v8
	s_cmp_eq_u32 s2, 0
	s_cbranch_scc1 .LBB6_2802
; %bb.2806:                             ;   in Loop: Header=BB6_2803 Depth=2
	s_sleep 1
	s_cbranch_execnz .LBB6_2803
.LBB6_2807:                             ;   in Loop: Header=BB6_2730 Depth=1
	global_load_b128 v[6:9], v[6:7], off
	s_and_saveexec_b32 s2, s1
	s_cbranch_execz .LBB6_2729
; %bb.2808:                             ;   in Loop: Header=BB6_2730 Depth=1
	s_clause 0x2
	global_load_b64 v[1:2], v10, s[4:5] offset:40
	global_load_b64 v[8:9], v10, s[4:5] offset:24 glc
	global_load_b64 v[15:16], v10, s[4:5]
	s_waitcnt vmcnt(2)
	v_add_co_u32 v17, vcc_lo, v1, 1
	v_add_co_ci_u32_e32 v18, vcc_lo, 0, v2, vcc_lo
	s_delay_alu instid0(VALU_DEP_2) | instskip(NEXT) | instid1(VALU_DEP_2)
	v_add_co_u32 v13, vcc_lo, v17, s12
	v_add_co_ci_u32_e32 v14, vcc_lo, s13, v18, vcc_lo
	s_delay_alu instid0(VALU_DEP_1) | instskip(SKIP_1) | instid1(VALU_DEP_1)
	v_cmp_eq_u64_e32 vcc_lo, 0, v[13:14]
	v_dual_cndmask_b32 v14, v14, v18 :: v_dual_cndmask_b32 v13, v13, v17
	v_and_b32_e32 v2, v14, v2
	s_delay_alu instid0(VALU_DEP_2) | instskip(NEXT) | instid1(VALU_DEP_1)
	v_and_b32_e32 v1, v13, v1
	v_mul_hi_u32 v17, v1, 24
	v_mul_lo_u32 v1, v1, 24
	s_waitcnt vmcnt(0)
	s_delay_alu instid0(VALU_DEP_1) | instskip(SKIP_2) | instid1(VALU_DEP_1)
	v_add_co_u32 v1, vcc_lo, v15, v1
	v_mov_b32_e32 v15, v8
	v_mul_lo_u32 v2, v2, 24
	v_add_nc_u32_e32 v2, v17, v2
	s_delay_alu instid0(VALU_DEP_1)
	v_add_co_ci_u32_e32 v2, vcc_lo, v16, v2, vcc_lo
	v_mov_b32_e32 v16, v9
	global_store_b64 v[1:2], v[8:9], off
	s_waitcnt_vscnt null, 0x0
	global_atomic_cmpswap_b64 v[15:16], v10, v[13:16], s[4:5] offset:24 glc
	s_waitcnt vmcnt(0)
	v_cmp_ne_u64_e32 vcc_lo, v[15:16], v[8:9]
	s_and_b32 exec_lo, exec_lo, vcc_lo
	s_cbranch_execz .LBB6_2729
; %bb.2809:                             ;   in Loop: Header=BB6_2730 Depth=1
	s_mov_b32 s1, 0
.LBB6_2810:                             ;   Parent Loop BB6_2730 Depth=1
                                        ; =>  This Inner Loop Header: Depth=2
	s_sleep 1
	global_store_b64 v[1:2], v[15:16], off
	s_waitcnt_vscnt null, 0x0
	global_atomic_cmpswap_b64 v[8:9], v10, v[13:16], s[4:5] offset:24 glc
	s_waitcnt vmcnt(0)
	v_cmp_eq_u64_e32 vcc_lo, v[8:9], v[15:16]
	v_dual_mov_b32 v16, v9 :: v_dual_mov_b32 v15, v8
	s_or_b32 s1, vcc_lo, s1
	s_delay_alu instid0(SALU_CYCLE_1)
	s_and_not1_b32 exec_lo, exec_lo, s1
	s_cbranch_execnz .LBB6_2810
	s_branch .LBB6_2729
.LBB6_2811:
	s_mov_b32 s1, 0
	s_branch .LBB6_2813
.LBB6_2812:
	s_mov_b32 s1, -1
                                        ; implicit-def: $vgpr6_vgpr7
.LBB6_2813:
	s_delay_alu instid0(SALU_CYCLE_1)
	s_and_b32 vcc_lo, exec_lo, s1
	s_cbranch_vccz .LBB6_2841
; %bb.2814:
	v_readfirstlane_b32 s1, v36
	v_mov_b32_e32 v1, 0
	v_mov_b32_e32 v2, 0
	s_delay_alu instid0(VALU_DEP_3) | instskip(NEXT) | instid1(VALU_DEP_1)
	v_cmp_eq_u32_e64 s1, s1, v36
	s_and_saveexec_b32 s2, s1
	s_cbranch_execz .LBB6_2820
; %bb.2815:
	s_waitcnt vmcnt(0)
	v_mov_b32_e32 v6, 0
	s_mov_b32 s3, exec_lo
	global_load_b64 v[9:10], v6, s[4:5] offset:24 glc
	s_waitcnt vmcnt(0)
	buffer_gl1_inv
	buffer_gl0_inv
	s_clause 0x1
	global_load_b64 v[1:2], v6, s[4:5] offset:40
	global_load_b64 v[7:8], v6, s[4:5]
	s_waitcnt vmcnt(1)
	v_and_b32_e32 v1, v1, v9
	v_and_b32_e32 v2, v2, v10
	s_delay_alu instid0(VALU_DEP_2) | instskip(NEXT) | instid1(VALU_DEP_2)
	v_mul_hi_u32 v11, v1, 24
	v_mul_lo_u32 v2, v2, 24
	v_mul_lo_u32 v1, v1, 24
	s_delay_alu instid0(VALU_DEP_2) | instskip(SKIP_1) | instid1(VALU_DEP_2)
	v_add_nc_u32_e32 v2, v11, v2
	s_waitcnt vmcnt(0)
	v_add_co_u32 v1, vcc_lo, v7, v1
	s_delay_alu instid0(VALU_DEP_2)
	v_add_co_ci_u32_e32 v2, vcc_lo, v8, v2, vcc_lo
	global_load_b64 v[7:8], v[1:2], off glc
	s_waitcnt vmcnt(0)
	global_atomic_cmpswap_b64 v[1:2], v6, v[7:10], s[4:5] offset:24 glc
	s_waitcnt vmcnt(0)
	buffer_gl1_inv
	buffer_gl0_inv
	v_cmpx_ne_u64_e64 v[1:2], v[9:10]
	s_cbranch_execz .LBB6_2819
; %bb.2816:
	s_mov_b32 s6, 0
.LBB6_2817:                             ; =>This Inner Loop Header: Depth=1
	s_sleep 1
	s_clause 0x1
	global_load_b64 v[7:8], v6, s[4:5] offset:40
	global_load_b64 v[11:12], v6, s[4:5]
	v_dual_mov_b32 v10, v2 :: v_dual_mov_b32 v9, v1
	s_waitcnt vmcnt(1)
	s_delay_alu instid0(VALU_DEP_1) | instskip(SKIP_1) | instid1(VALU_DEP_1)
	v_and_b32_e32 v7, v7, v9
	s_waitcnt vmcnt(0)
	v_mad_u64_u32 v[1:2], null, v7, 24, v[11:12]
	v_and_b32_e32 v11, v8, v10
	s_delay_alu instid0(VALU_DEP_1) | instskip(NEXT) | instid1(VALU_DEP_1)
	v_mad_u64_u32 v[7:8], null, v11, 24, v[2:3]
	v_mov_b32_e32 v2, v7
	global_load_b64 v[7:8], v[1:2], off glc
	s_waitcnt vmcnt(0)
	global_atomic_cmpswap_b64 v[1:2], v6, v[7:10], s[4:5] offset:24 glc
	s_waitcnt vmcnt(0)
	buffer_gl1_inv
	buffer_gl0_inv
	v_cmp_eq_u64_e32 vcc_lo, v[1:2], v[9:10]
	s_or_b32 s6, vcc_lo, s6
	s_delay_alu instid0(SALU_CYCLE_1)
	s_and_not1_b32 exec_lo, exec_lo, s6
	s_cbranch_execnz .LBB6_2817
; %bb.2818:
	s_or_b32 exec_lo, exec_lo, s6
.LBB6_2819:
	s_delay_alu instid0(SALU_CYCLE_1)
	s_or_b32 exec_lo, exec_lo, s3
.LBB6_2820:
	s_delay_alu instid0(SALU_CYCLE_1)
	s_or_b32 exec_lo, exec_lo, s2
	s_waitcnt vmcnt(0)
	v_mov_b32_e32 v6, 0
	v_readfirstlane_b32 s2, v1
	v_readfirstlane_b32 s3, v2
	s_mov_b32 s8, exec_lo
	s_clause 0x1
	global_load_b64 v[12:13], v6, s[4:5] offset:40
	global_load_b128 v[8:11], v6, s[4:5]
	s_waitcnt vmcnt(1)
	v_readfirstlane_b32 s6, v12
	v_readfirstlane_b32 s7, v13
	s_delay_alu instid0(VALU_DEP_1) | instskip(NEXT) | instid1(SALU_CYCLE_1)
	s_and_b64 s[6:7], s[2:3], s[6:7]
	s_mul_i32 s9, s7, 24
	s_mul_hi_u32 s10, s6, 24
	s_mul_i32 s11, s6, 24
	s_add_i32 s10, s10, s9
	s_waitcnt vmcnt(0)
	v_add_co_u32 v1, vcc_lo, v8, s11
	v_add_co_ci_u32_e32 v2, vcc_lo, s10, v9, vcc_lo
	s_and_saveexec_b32 s9, s1
	s_cbranch_execz .LBB6_2822
; %bb.2821:
	v_dual_mov_b32 v12, s8 :: v_dual_mov_b32 v13, v6
	v_dual_mov_b32 v14, 2 :: v_dual_mov_b32 v15, 1
	global_store_b128 v[1:2], v[12:15], off offset:8
.LBB6_2822:
	s_or_b32 exec_lo, exec_lo, s9
	s_lshl_b64 s[6:7], s[6:7], 12
	s_mov_b32 s8, 0
	v_add_co_u32 v10, vcc_lo, v10, s6
	v_add_co_ci_u32_e32 v11, vcc_lo, s7, v11, vcc_lo
	s_mov_b32 s11, s8
	s_delay_alu instid0(VALU_DEP_2)
	v_readfirstlane_b32 s6, v10
	v_add_co_u32 v10, vcc_lo, v10, v35
	s_mov_b32 s9, s8
	s_mov_b32 s10, s8
	v_and_or_b32 v4, 0xffffff1f, v4, 32
	v_mov_b32_e32 v7, v6
	v_readfirstlane_b32 s7, v11
	v_dual_mov_b32 v15, s11 :: v_dual_mov_b32 v12, s8
	v_add_co_ci_u32_e32 v11, vcc_lo, 0, v11, vcc_lo
	v_dual_mov_b32 v14, s10 :: v_dual_mov_b32 v13, s9
	s_clause 0x3
	global_store_b128 v35, v[4:7], s[6:7]
	global_store_b128 v35, v[12:15], s[6:7] offset:16
	global_store_b128 v35, v[12:15], s[6:7] offset:32
	;; [unrolled: 1-line block ×3, first 2 shown]
	s_and_saveexec_b32 s6, s1
	s_cbranch_execz .LBB6_2830
; %bb.2823:
	v_dual_mov_b32 v12, 0 :: v_dual_mov_b32 v13, s2
	v_mov_b32_e32 v14, s3
	s_clause 0x1
	global_load_b64 v[15:16], v12, s[4:5] offset:32 glc
	global_load_b64 v[4:5], v12, s[4:5] offset:40
	s_waitcnt vmcnt(0)
	v_readfirstlane_b32 s8, v4
	v_readfirstlane_b32 s9, v5
	s_delay_alu instid0(VALU_DEP_1) | instskip(NEXT) | instid1(SALU_CYCLE_1)
	s_and_b64 s[8:9], s[8:9], s[2:3]
	s_mul_i32 s7, s9, 24
	s_mul_hi_u32 s9, s8, 24
	s_mul_i32 s8, s8, 24
	s_add_i32 s9, s9, s7
	v_add_co_u32 v8, vcc_lo, v8, s8
	v_add_co_ci_u32_e32 v9, vcc_lo, s9, v9, vcc_lo
	s_mov_b32 s7, exec_lo
	global_store_b64 v[8:9], v[15:16], off
	s_waitcnt_vscnt null, 0x0
	global_atomic_cmpswap_b64 v[6:7], v12, v[13:16], s[4:5] offset:32 glc
	s_waitcnt vmcnt(0)
	v_cmpx_ne_u64_e64 v[6:7], v[15:16]
	s_cbranch_execz .LBB6_2826
; %bb.2824:
	s_mov_b32 s8, 0
.LBB6_2825:                             ; =>This Inner Loop Header: Depth=1
	v_dual_mov_b32 v4, s2 :: v_dual_mov_b32 v5, s3
	s_sleep 1
	global_store_b64 v[8:9], v[6:7], off
	s_waitcnt_vscnt null, 0x0
	global_atomic_cmpswap_b64 v[4:5], v12, v[4:7], s[4:5] offset:32 glc
	s_waitcnt vmcnt(0)
	v_cmp_eq_u64_e32 vcc_lo, v[4:5], v[6:7]
	v_dual_mov_b32 v7, v5 :: v_dual_mov_b32 v6, v4
	s_or_b32 s8, vcc_lo, s8
	s_delay_alu instid0(SALU_CYCLE_1)
	s_and_not1_b32 exec_lo, exec_lo, s8
	s_cbranch_execnz .LBB6_2825
.LBB6_2826:
	s_or_b32 exec_lo, exec_lo, s7
	v_mov_b32_e32 v7, 0
	s_mov_b32 s8, exec_lo
	s_mov_b32 s7, exec_lo
	v_mbcnt_lo_u32_b32 v6, s8, 0
	global_load_b64 v[4:5], v7, s[4:5] offset:16
	v_cmpx_eq_u32_e32 0, v6
	s_cbranch_execz .LBB6_2828
; %bb.2827:
	s_bcnt1_i32_b32 s8, s8
	s_delay_alu instid0(SALU_CYCLE_1)
	v_mov_b32_e32 v6, s8
	s_waitcnt vmcnt(0)
	global_atomic_add_u64 v[4:5], v[6:7], off offset:8
.LBB6_2828:
	s_or_b32 exec_lo, exec_lo, s7
	s_waitcnt vmcnt(0)
	global_load_b64 v[6:7], v[4:5], off offset:16
	s_waitcnt vmcnt(0)
	v_cmp_eq_u64_e32 vcc_lo, 0, v[6:7]
	s_cbranch_vccnz .LBB6_2830
; %bb.2829:
	global_load_b32 v4, v[4:5], off offset:24
	s_waitcnt vmcnt(0)
	v_dual_mov_b32 v5, 0 :: v_dual_and_b32 v8, 0xffffff, v4
	s_waitcnt_vscnt null, 0x0
	global_store_b64 v[6:7], v[4:5], off
	v_readfirstlane_b32 m0, v8
	s_sendmsg sendmsg(MSG_INTERRUPT)
.LBB6_2830:
	s_or_b32 exec_lo, exec_lo, s6
	s_branch .LBB6_2832
.LBB6_2831:
	s_branch .LBB6_2836
.LBB6_2832:                             ; =>This Inner Loop Header: Depth=1
	v_mov_b32_e32 v4, 1
	s_and_saveexec_b32 s6, s1
	s_cbranch_execz .LBB6_2834
; %bb.2833:                             ;   in Loop: Header=BB6_2832 Depth=1
	global_load_b32 v4, v[1:2], off offset:20 glc
	s_waitcnt vmcnt(0)
	buffer_gl1_inv
	buffer_gl0_inv
	v_and_b32_e32 v4, 1, v4
.LBB6_2834:                             ;   in Loop: Header=BB6_2832 Depth=1
	s_or_b32 exec_lo, exec_lo, s6
	s_delay_alu instid0(VALU_DEP_1) | instskip(NEXT) | instid1(VALU_DEP_1)
	v_readfirstlane_b32 s6, v4
	s_cmp_eq_u32 s6, 0
	s_cbranch_scc1 .LBB6_2831
; %bb.2835:                             ;   in Loop: Header=BB6_2832 Depth=1
	s_sleep 1
	s_cbranch_execnz .LBB6_2832
.LBB6_2836:
	global_load_b64 v[6:7], v[10:11], off
	s_and_saveexec_b32 s6, s1
	s_cbranch_execz .LBB6_2840
; %bb.2837:
	v_mov_b32_e32 v4, 0
	s_clause 0x2
	global_load_b64 v[1:2], v4, s[4:5] offset:40
	global_load_b64 v[12:13], v4, s[4:5] offset:24 glc
	global_load_b64 v[10:11], v4, s[4:5]
	s_waitcnt vmcnt(2)
	v_add_co_u32 v5, vcc_lo, v1, 1
	v_add_co_ci_u32_e32 v14, vcc_lo, 0, v2, vcc_lo
	s_delay_alu instid0(VALU_DEP_2) | instskip(NEXT) | instid1(VALU_DEP_2)
	v_add_co_u32 v8, vcc_lo, v5, s2
	v_add_co_ci_u32_e32 v9, vcc_lo, s3, v14, vcc_lo
	s_delay_alu instid0(VALU_DEP_1) | instskip(SKIP_1) | instid1(VALU_DEP_1)
	v_cmp_eq_u64_e32 vcc_lo, 0, v[8:9]
	v_dual_cndmask_b32 v9, v9, v14 :: v_dual_cndmask_b32 v8, v8, v5
	v_and_b32_e32 v2, v9, v2
	s_delay_alu instid0(VALU_DEP_2) | instskip(NEXT) | instid1(VALU_DEP_2)
	v_and_b32_e32 v1, v8, v1
	v_mul_lo_u32 v2, v2, 24
	s_delay_alu instid0(VALU_DEP_2) | instskip(SKIP_1) | instid1(VALU_DEP_2)
	v_mul_hi_u32 v5, v1, 24
	v_mul_lo_u32 v1, v1, 24
	v_add_nc_u32_e32 v2, v5, v2
	s_waitcnt vmcnt(0)
	s_delay_alu instid0(VALU_DEP_2) | instskip(SKIP_1) | instid1(VALU_DEP_3)
	v_add_co_u32 v1, vcc_lo, v10, v1
	v_mov_b32_e32 v10, v12
	v_add_co_ci_u32_e32 v2, vcc_lo, v11, v2, vcc_lo
	v_mov_b32_e32 v11, v13
	global_store_b64 v[1:2], v[12:13], off
	s_waitcnt_vscnt null, 0x0
	global_atomic_cmpswap_b64 v[10:11], v4, v[8:11], s[4:5] offset:24 glc
	s_waitcnt vmcnt(0)
	v_cmp_ne_u64_e32 vcc_lo, v[10:11], v[12:13]
	s_and_b32 exec_lo, exec_lo, vcc_lo
	s_cbranch_execz .LBB6_2840
; %bb.2838:
	s_mov_b32 s1, 0
.LBB6_2839:                             ; =>This Inner Loop Header: Depth=1
	s_sleep 1
	global_store_b64 v[1:2], v[10:11], off
	s_waitcnt_vscnt null, 0x0
	global_atomic_cmpswap_b64 v[12:13], v4, v[8:11], s[4:5] offset:24 glc
	s_waitcnt vmcnt(0)
	v_cmp_eq_u64_e32 vcc_lo, v[12:13], v[10:11]
	v_dual_mov_b32 v10, v12 :: v_dual_mov_b32 v11, v13
	s_or_b32 s1, vcc_lo, s1
	s_delay_alu instid0(SALU_CYCLE_1)
	s_and_not1_b32 exec_lo, exec_lo, s1
	s_cbranch_execnz .LBB6_2839
.LBB6_2840:
	s_or_b32 exec_lo, exec_lo, s6
.LBB6_2841:
	v_readfirstlane_b32 s1, v36
	v_mov_b32_e32 v1, 0
	v_mov_b32_e32 v2, 0
	s_delay_alu instid0(VALU_DEP_3) | instskip(NEXT) | instid1(VALU_DEP_1)
	v_cmp_eq_u32_e64 s1, s1, v36
	s_and_saveexec_b32 s2, s1
	s_cbranch_execz .LBB6_2847
; %bb.2842:
	s_waitcnt vmcnt(0)
	v_mov_b32_e32 v4, 0
	s_mov_b32 s3, exec_lo
	global_load_b64 v[10:11], v4, s[4:5] offset:24 glc
	s_waitcnt vmcnt(0)
	buffer_gl1_inv
	buffer_gl0_inv
	s_clause 0x1
	global_load_b64 v[1:2], v4, s[4:5] offset:40
	global_load_b64 v[8:9], v4, s[4:5]
	s_waitcnt vmcnt(1)
	v_and_b32_e32 v1, v1, v10
	v_and_b32_e32 v2, v2, v11
	s_delay_alu instid0(VALU_DEP_2) | instskip(NEXT) | instid1(VALU_DEP_2)
	v_mul_hi_u32 v5, v1, 24
	v_mul_lo_u32 v2, v2, 24
	v_mul_lo_u32 v1, v1, 24
	s_delay_alu instid0(VALU_DEP_2) | instskip(SKIP_1) | instid1(VALU_DEP_2)
	v_add_nc_u32_e32 v2, v5, v2
	s_waitcnt vmcnt(0)
	v_add_co_u32 v1, vcc_lo, v8, v1
	s_delay_alu instid0(VALU_DEP_2)
	v_add_co_ci_u32_e32 v2, vcc_lo, v9, v2, vcc_lo
	global_load_b64 v[8:9], v[1:2], off glc
	s_waitcnt vmcnt(0)
	global_atomic_cmpswap_b64 v[1:2], v4, v[8:11], s[4:5] offset:24 glc
	s_waitcnt vmcnt(0)
	buffer_gl1_inv
	buffer_gl0_inv
	v_cmpx_ne_u64_e64 v[1:2], v[10:11]
	s_cbranch_execz .LBB6_2846
; %bb.2843:
	s_mov_b32 s6, 0
.LBB6_2844:                             ; =>This Inner Loop Header: Depth=1
	s_sleep 1
	s_clause 0x1
	global_load_b64 v[8:9], v4, s[4:5] offset:40
	global_load_b64 v[12:13], v4, s[4:5]
	v_dual_mov_b32 v11, v2 :: v_dual_mov_b32 v10, v1
	s_waitcnt vmcnt(1)
	s_delay_alu instid0(VALU_DEP_1) | instskip(SKIP_1) | instid1(VALU_DEP_1)
	v_and_b32_e32 v5, v8, v10
	s_waitcnt vmcnt(0)
	v_mad_u64_u32 v[1:2], null, v5, 24, v[12:13]
	v_and_b32_e32 v5, v9, v11
	s_delay_alu instid0(VALU_DEP_1) | instskip(NEXT) | instid1(VALU_DEP_1)
	v_mad_u64_u32 v[8:9], null, v5, 24, v[2:3]
	v_mov_b32_e32 v2, v8
	global_load_b64 v[8:9], v[1:2], off glc
	s_waitcnt vmcnt(0)
	global_atomic_cmpswap_b64 v[1:2], v4, v[8:11], s[4:5] offset:24 glc
	s_waitcnt vmcnt(0)
	buffer_gl1_inv
	buffer_gl0_inv
	v_cmp_eq_u64_e32 vcc_lo, v[1:2], v[10:11]
	s_or_b32 s6, vcc_lo, s6
	s_delay_alu instid0(SALU_CYCLE_1)
	s_and_not1_b32 exec_lo, exec_lo, s6
	s_cbranch_execnz .LBB6_2844
; %bb.2845:
	s_or_b32 exec_lo, exec_lo, s6
.LBB6_2846:
	s_delay_alu instid0(SALU_CYCLE_1)
	s_or_b32 exec_lo, exec_lo, s3
.LBB6_2847:
	s_delay_alu instid0(SALU_CYCLE_1)
	s_or_b32 exec_lo, exec_lo, s2
	s_waitcnt vmcnt(0)
	v_mov_b32_e32 v9, 0
	v_readfirstlane_b32 s2, v1
	v_readfirstlane_b32 s3, v2
	s_mov_b32 s8, exec_lo
	s_clause 0x1
	global_load_b64 v[4:5], v9, s[4:5] offset:40
	global_load_b128 v[10:13], v9, s[4:5]
	s_waitcnt vmcnt(1)
	v_readfirstlane_b32 s6, v4
	v_readfirstlane_b32 s7, v5
	s_delay_alu instid0(VALU_DEP_1) | instskip(NEXT) | instid1(SALU_CYCLE_1)
	s_and_b64 s[6:7], s[2:3], s[6:7]
	s_mul_i32 s9, s7, 24
	s_mul_hi_u32 s10, s6, 24
	s_mul_i32 s11, s6, 24
	s_add_i32 s10, s10, s9
	s_waitcnt vmcnt(0)
	v_add_co_u32 v1, vcc_lo, v10, s11
	v_add_co_ci_u32_e32 v2, vcc_lo, s10, v11, vcc_lo
	s_and_saveexec_b32 s9, s1
	s_cbranch_execz .LBB6_2849
; %bb.2848:
	v_dual_mov_b32 v8, s8 :: v_dual_mov_b32 v17, 1
	v_dual_mov_b32 v16, 2 :: v_dual_mov_b32 v15, v9
	s_delay_alu instid0(VALU_DEP_2)
	v_mov_b32_e32 v14, v8
	global_store_b128 v[1:2], v[14:17], off offset:8
.LBB6_2849:
	s_or_b32 exec_lo, exec_lo, s9
	s_lshl_b64 s[6:7], s[6:7], 12
	s_mov_b32 s8, 0
	v_add_co_u32 v4, vcc_lo, v12, s6
	v_add_co_ci_u32_e32 v5, vcc_lo, s7, v13, vcc_lo
	s_mov_b32 s11, s8
	s_delay_alu instid0(VALU_DEP_2)
	v_add_co_u32 v12, vcc_lo, v4, v35
	s_mov_b32 s9, s8
	s_mov_b32 s10, s8
	v_and_or_b32 v6, 0xffffff1f, v6, 32
	v_dual_mov_b32 v8, v37 :: v_dual_mov_b32 v17, s11
	v_readfirstlane_b32 s6, v4
	v_readfirstlane_b32 s7, v5
	v_add_co_ci_u32_e32 v13, vcc_lo, 0, v5, vcc_lo
	v_dual_mov_b32 v16, s10 :: v_dual_mov_b32 v15, s9
	v_mov_b32_e32 v14, s8
	s_clause 0x3
	global_store_b128 v35, v[6:9], s[6:7]
	global_store_b128 v35, v[14:17], s[6:7] offset:16
	global_store_b128 v35, v[14:17], s[6:7] offset:32
	;; [unrolled: 1-line block ×3, first 2 shown]
	s_and_saveexec_b32 s6, s1
	s_cbranch_execz .LBB6_2857
; %bb.2850:
	v_dual_mov_b32 v14, 0 :: v_dual_mov_b32 v15, s2
	v_mov_b32_e32 v16, s3
	s_clause 0x1
	global_load_b64 v[17:18], v14, s[4:5] offset:32 glc
	global_load_b64 v[4:5], v14, s[4:5] offset:40
	s_waitcnt vmcnt(0)
	v_readfirstlane_b32 s8, v4
	v_readfirstlane_b32 s9, v5
	s_delay_alu instid0(VALU_DEP_1) | instskip(NEXT) | instid1(SALU_CYCLE_1)
	s_and_b64 s[8:9], s[8:9], s[2:3]
	s_mul_i32 s7, s9, 24
	s_mul_hi_u32 s9, s8, 24
	s_mul_i32 s8, s8, 24
	s_add_i32 s9, s9, s7
	v_add_co_u32 v8, vcc_lo, v10, s8
	v_add_co_ci_u32_e32 v9, vcc_lo, s9, v11, vcc_lo
	s_mov_b32 s7, exec_lo
	global_store_b64 v[8:9], v[17:18], off
	s_waitcnt_vscnt null, 0x0
	global_atomic_cmpswap_b64 v[6:7], v14, v[15:18], s[4:5] offset:32 glc
	s_waitcnt vmcnt(0)
	v_cmpx_ne_u64_e64 v[6:7], v[17:18]
	s_cbranch_execz .LBB6_2853
; %bb.2851:
	s_mov_b32 s8, 0
.LBB6_2852:                             ; =>This Inner Loop Header: Depth=1
	v_dual_mov_b32 v4, s2 :: v_dual_mov_b32 v5, s3
	s_sleep 1
	global_store_b64 v[8:9], v[6:7], off
	s_waitcnt_vscnt null, 0x0
	global_atomic_cmpswap_b64 v[4:5], v14, v[4:7], s[4:5] offset:32 glc
	s_waitcnt vmcnt(0)
	v_cmp_eq_u64_e32 vcc_lo, v[4:5], v[6:7]
	v_dual_mov_b32 v7, v5 :: v_dual_mov_b32 v6, v4
	s_or_b32 s8, vcc_lo, s8
	s_delay_alu instid0(SALU_CYCLE_1)
	s_and_not1_b32 exec_lo, exec_lo, s8
	s_cbranch_execnz .LBB6_2852
.LBB6_2853:
	s_or_b32 exec_lo, exec_lo, s7
	v_mov_b32_e32 v7, 0
	s_mov_b32 s8, exec_lo
	s_mov_b32 s7, exec_lo
	v_mbcnt_lo_u32_b32 v6, s8, 0
	global_load_b64 v[4:5], v7, s[4:5] offset:16
	v_cmpx_eq_u32_e32 0, v6
	s_cbranch_execz .LBB6_2855
; %bb.2854:
	s_bcnt1_i32_b32 s8, s8
	s_delay_alu instid0(SALU_CYCLE_1)
	v_mov_b32_e32 v6, s8
	s_waitcnt vmcnt(0)
	global_atomic_add_u64 v[4:5], v[6:7], off offset:8
.LBB6_2855:
	s_or_b32 exec_lo, exec_lo, s7
	s_waitcnt vmcnt(0)
	global_load_b64 v[6:7], v[4:5], off offset:16
	s_waitcnt vmcnt(0)
	v_cmp_eq_u64_e32 vcc_lo, 0, v[6:7]
	s_cbranch_vccnz .LBB6_2857
; %bb.2856:
	global_load_b32 v4, v[4:5], off offset:24
	s_waitcnt vmcnt(0)
	v_dual_mov_b32 v5, 0 :: v_dual_and_b32 v8, 0xffffff, v4
	s_waitcnt_vscnt null, 0x0
	global_store_b64 v[6:7], v[4:5], off
	v_readfirstlane_b32 m0, v8
	s_sendmsg sendmsg(MSG_INTERRUPT)
.LBB6_2857:
	s_or_b32 exec_lo, exec_lo, s6
	s_branch .LBB6_2859
.LBB6_2858:
	s_branch .LBB6_2863
.LBB6_2859:                             ; =>This Inner Loop Header: Depth=1
	v_mov_b32_e32 v4, 1
	s_and_saveexec_b32 s6, s1
	s_cbranch_execz .LBB6_2861
; %bb.2860:                             ;   in Loop: Header=BB6_2859 Depth=1
	global_load_b32 v4, v[1:2], off offset:20 glc
	s_waitcnt vmcnt(0)
	buffer_gl1_inv
	buffer_gl0_inv
	v_and_b32_e32 v4, 1, v4
.LBB6_2861:                             ;   in Loop: Header=BB6_2859 Depth=1
	s_or_b32 exec_lo, exec_lo, s6
	s_delay_alu instid0(VALU_DEP_1) | instskip(NEXT) | instid1(VALU_DEP_1)
	v_readfirstlane_b32 s6, v4
	s_cmp_eq_u32 s6, 0
	s_cbranch_scc1 .LBB6_2858
; %bb.2862:                             ;   in Loop: Header=BB6_2859 Depth=1
	s_sleep 1
	s_cbranch_execnz .LBB6_2859
.LBB6_2863:
	global_load_b64 v[1:2], v[12:13], off
	s_and_saveexec_b32 s6, s1
	s_cbranch_execz .LBB6_2867
; %bb.2864:
	v_mov_b32_e32 v10, 0
	s_clause 0x2
	global_load_b64 v[6:7], v10, s[4:5] offset:40
	global_load_b64 v[11:12], v10, s[4:5] offset:24 glc
	global_load_b64 v[8:9], v10, s[4:5]
	s_waitcnt vmcnt(2)
	v_add_co_u32 v13, vcc_lo, v6, 1
	v_add_co_ci_u32_e32 v14, vcc_lo, 0, v7, vcc_lo
	s_delay_alu instid0(VALU_DEP_2) | instskip(NEXT) | instid1(VALU_DEP_2)
	v_add_co_u32 v4, vcc_lo, v13, s2
	v_add_co_ci_u32_e32 v5, vcc_lo, s3, v14, vcc_lo
	s_delay_alu instid0(VALU_DEP_1) | instskip(SKIP_1) | instid1(VALU_DEP_1)
	v_cmp_eq_u64_e32 vcc_lo, 0, v[4:5]
	v_dual_cndmask_b32 v5, v5, v14 :: v_dual_cndmask_b32 v4, v4, v13
	v_and_b32_e32 v7, v5, v7
	s_delay_alu instid0(VALU_DEP_2) | instskip(NEXT) | instid1(VALU_DEP_2)
	v_and_b32_e32 v6, v4, v6
	v_mul_lo_u32 v7, v7, 24
	s_delay_alu instid0(VALU_DEP_2) | instskip(SKIP_1) | instid1(VALU_DEP_2)
	v_mul_hi_u32 v13, v6, 24
	v_mul_lo_u32 v6, v6, 24
	v_add_nc_u32_e32 v7, v13, v7
	s_waitcnt vmcnt(0)
	s_delay_alu instid0(VALU_DEP_2) | instskip(SKIP_1) | instid1(VALU_DEP_3)
	v_add_co_u32 v8, vcc_lo, v8, v6
	v_mov_b32_e32 v6, v11
	v_add_co_ci_u32_e32 v9, vcc_lo, v9, v7, vcc_lo
	v_mov_b32_e32 v7, v12
	global_store_b64 v[8:9], v[11:12], off
	s_waitcnt_vscnt null, 0x0
	global_atomic_cmpswap_b64 v[6:7], v10, v[4:7], s[4:5] offset:24 glc
	s_waitcnt vmcnt(0)
	v_cmp_ne_u64_e32 vcc_lo, v[6:7], v[11:12]
	s_and_b32 exec_lo, exec_lo, vcc_lo
	s_cbranch_execz .LBB6_2867
; %bb.2865:
	s_mov_b32 s1, 0
.LBB6_2866:                             ; =>This Inner Loop Header: Depth=1
	s_sleep 1
	global_store_b64 v[8:9], v[6:7], off
	s_waitcnt_vscnt null, 0x0
	global_atomic_cmpswap_b64 v[11:12], v10, v[4:7], s[4:5] offset:24 glc
	s_waitcnt vmcnt(0)
	v_cmp_eq_u64_e32 vcc_lo, v[11:12], v[6:7]
	v_dual_mov_b32 v6, v11 :: v_dual_mov_b32 v7, v12
	s_or_b32 s1, vcc_lo, s1
	s_delay_alu instid0(SALU_CYCLE_1)
	s_and_not1_b32 exec_lo, exec_lo, s1
	s_cbranch_execnz .LBB6_2866
.LBB6_2867:
	s_or_b32 exec_lo, exec_lo, s6
	v_readfirstlane_b32 s1, v36
	v_mov_b32_e32 v9, 0
	v_mov_b32_e32 v10, 0
	s_delay_alu instid0(VALU_DEP_3) | instskip(NEXT) | instid1(VALU_DEP_1)
	v_cmp_eq_u32_e64 s1, s1, v36
	s_and_saveexec_b32 s2, s1
	s_cbranch_execz .LBB6_2873
; %bb.2868:
	v_mov_b32_e32 v4, 0
	s_mov_b32 s3, exec_lo
	global_load_b64 v[7:8], v4, s[4:5] offset:24 glc
	s_waitcnt vmcnt(0)
	buffer_gl1_inv
	buffer_gl0_inv
	s_clause 0x1
	global_load_b64 v[5:6], v4, s[4:5] offset:40
	global_load_b64 v[9:10], v4, s[4:5]
	s_waitcnt vmcnt(1)
	v_and_b32_e32 v5, v5, v7
	v_and_b32_e32 v6, v6, v8
	s_delay_alu instid0(VALU_DEP_2) | instskip(NEXT) | instid1(VALU_DEP_2)
	v_mul_hi_u32 v11, v5, 24
	v_mul_lo_u32 v6, v6, 24
	v_mul_lo_u32 v5, v5, 24
	s_delay_alu instid0(VALU_DEP_2) | instskip(SKIP_1) | instid1(VALU_DEP_2)
	v_add_nc_u32_e32 v6, v11, v6
	s_waitcnt vmcnt(0)
	v_add_co_u32 v5, vcc_lo, v9, v5
	s_delay_alu instid0(VALU_DEP_2)
	v_add_co_ci_u32_e32 v6, vcc_lo, v10, v6, vcc_lo
	global_load_b64 v[5:6], v[5:6], off glc
	s_waitcnt vmcnt(0)
	global_atomic_cmpswap_b64 v[9:10], v4, v[5:8], s[4:5] offset:24 glc
	s_waitcnt vmcnt(0)
	buffer_gl1_inv
	buffer_gl0_inv
	v_cmpx_ne_u64_e64 v[9:10], v[7:8]
	s_cbranch_execz .LBB6_2872
; %bb.2869:
	s_mov_b32 s6, 0
.LBB6_2870:                             ; =>This Inner Loop Header: Depth=1
	s_sleep 1
	s_clause 0x1
	global_load_b64 v[5:6], v4, s[4:5] offset:40
	global_load_b64 v[11:12], v4, s[4:5]
	v_dual_mov_b32 v7, v9 :: v_dual_mov_b32 v8, v10
	s_waitcnt vmcnt(1)
	s_delay_alu instid0(VALU_DEP_1) | instskip(NEXT) | instid1(VALU_DEP_2)
	v_and_b32_e32 v5, v5, v7
	v_and_b32_e32 v6, v6, v8
	s_waitcnt vmcnt(0)
	s_delay_alu instid0(VALU_DEP_2) | instskip(NEXT) | instid1(VALU_DEP_1)
	v_mad_u64_u32 v[9:10], null, v5, 24, v[11:12]
	v_mov_b32_e32 v5, v10
	s_delay_alu instid0(VALU_DEP_1)
	v_mad_u64_u32 v[10:11], null, v6, 24, v[5:6]
	global_load_b64 v[5:6], v[9:10], off glc
	s_waitcnt vmcnt(0)
	global_atomic_cmpswap_b64 v[9:10], v4, v[5:8], s[4:5] offset:24 glc
	s_waitcnt vmcnt(0)
	buffer_gl1_inv
	buffer_gl0_inv
	v_cmp_eq_u64_e32 vcc_lo, v[9:10], v[7:8]
	s_or_b32 s6, vcc_lo, s6
	s_delay_alu instid0(SALU_CYCLE_1)
	s_and_not1_b32 exec_lo, exec_lo, s6
	s_cbranch_execnz .LBB6_2870
; %bb.2871:
	s_or_b32 exec_lo, exec_lo, s6
.LBB6_2872:
	s_delay_alu instid0(SALU_CYCLE_1)
	s_or_b32 exec_lo, exec_lo, s3
.LBB6_2873:
	s_delay_alu instid0(SALU_CYCLE_1)
	s_or_b32 exec_lo, exec_lo, s2
	v_mov_b32_e32 v4, 0
	v_readfirstlane_b32 s2, v9
	v_readfirstlane_b32 s3, v10
	s_mov_b32 s8, exec_lo
	s_clause 0x1
	global_load_b64 v[11:12], v4, s[4:5] offset:40
	global_load_b128 v[5:8], v4, s[4:5]
	s_waitcnt vmcnt(1)
	v_readfirstlane_b32 s6, v11
	v_readfirstlane_b32 s7, v12
	s_delay_alu instid0(VALU_DEP_1) | instskip(NEXT) | instid1(SALU_CYCLE_1)
	s_and_b64 s[6:7], s[2:3], s[6:7]
	s_mul_i32 s9, s7, 24
	s_mul_hi_u32 s10, s6, 24
	s_mul_i32 s11, s6, 24
	s_add_i32 s10, s10, s9
	s_waitcnt vmcnt(0)
	v_add_co_u32 v9, vcc_lo, v5, s11
	v_add_co_ci_u32_e32 v10, vcc_lo, s10, v6, vcc_lo
	s_and_saveexec_b32 s9, s1
	s_cbranch_execz .LBB6_2875
; %bb.2874:
	v_dual_mov_b32 v11, s8 :: v_dual_mov_b32 v12, v4
	v_dual_mov_b32 v13, 2 :: v_dual_mov_b32 v14, 1
	global_store_b128 v[9:10], v[11:14], off offset:8
.LBB6_2875:
	s_or_b32 exec_lo, exec_lo, s9
	s_lshl_b64 s[6:7], s[6:7], 12
	s_mov_b32 s8, 0
	v_add_co_u32 v7, vcc_lo, v7, s6
	v_add_co_ci_u32_e32 v8, vcc_lo, s7, v8, vcc_lo
	s_mov_b32 s11, s8
	s_mov_b32 s9, s8
	;; [unrolled: 1-line block ×3, first 2 shown]
	v_and_or_b32 v1, 0xffffff1d, v1, 34
	v_readfirstlane_b32 s6, v7
	v_readfirstlane_b32 s7, v8
	v_dual_mov_b32 v14, s11 :: v_dual_mov_b32 v13, s10
	v_dual_mov_b32 v12, s9 :: v_dual_mov_b32 v11, s8
	s_clause 0x3
	global_store_b128 v35, v[1:4], s[6:7]
	global_store_b128 v35, v[11:14], s[6:7] offset:16
	global_store_b128 v35, v[11:14], s[6:7] offset:32
	;; [unrolled: 1-line block ×3, first 2 shown]
	s_and_saveexec_b32 s6, s1
	s_cbranch_execz .LBB6_2883
; %bb.2876:
	v_dual_mov_b32 v7, 0 :: v_dual_mov_b32 v12, s3
	v_mov_b32_e32 v11, s2
	s_clause 0x1
	global_load_b64 v[13:14], v7, s[4:5] offset:32 glc
	global_load_b64 v[1:2], v7, s[4:5] offset:40
	s_waitcnt vmcnt(0)
	v_readfirstlane_b32 s8, v1
	v_readfirstlane_b32 s9, v2
	s_delay_alu instid0(VALU_DEP_1) | instskip(NEXT) | instid1(SALU_CYCLE_1)
	s_and_b64 s[8:9], s[8:9], s[2:3]
	s_mul_i32 s7, s9, 24
	s_mul_hi_u32 s9, s8, 24
	s_mul_i32 s8, s8, 24
	s_add_i32 s9, s9, s7
	v_add_co_u32 v5, vcc_lo, v5, s8
	v_add_co_ci_u32_e32 v6, vcc_lo, s9, v6, vcc_lo
	s_mov_b32 s7, exec_lo
	global_store_b64 v[5:6], v[13:14], off
	s_waitcnt_vscnt null, 0x0
	global_atomic_cmpswap_b64 v[3:4], v7, v[11:14], s[4:5] offset:32 glc
	s_waitcnt vmcnt(0)
	v_cmpx_ne_u64_e64 v[3:4], v[13:14]
	s_cbranch_execz .LBB6_2879
; %bb.2877:
	s_mov_b32 s8, 0
.LBB6_2878:                             ; =>This Inner Loop Header: Depth=1
	v_dual_mov_b32 v1, s2 :: v_dual_mov_b32 v2, s3
	s_sleep 1
	global_store_b64 v[5:6], v[3:4], off
	s_waitcnt_vscnt null, 0x0
	global_atomic_cmpswap_b64 v[1:2], v7, v[1:4], s[4:5] offset:32 glc
	s_waitcnt vmcnt(0)
	v_cmp_eq_u64_e32 vcc_lo, v[1:2], v[3:4]
	v_dual_mov_b32 v4, v2 :: v_dual_mov_b32 v3, v1
	s_or_b32 s8, vcc_lo, s8
	s_delay_alu instid0(SALU_CYCLE_1)
	s_and_not1_b32 exec_lo, exec_lo, s8
	s_cbranch_execnz .LBB6_2878
.LBB6_2879:
	s_or_b32 exec_lo, exec_lo, s7
	v_mov_b32_e32 v4, 0
	s_mov_b32 s8, exec_lo
	s_mov_b32 s7, exec_lo
	v_mbcnt_lo_u32_b32 v3, s8, 0
	global_load_b64 v[1:2], v4, s[4:5] offset:16
	v_cmpx_eq_u32_e32 0, v3
	s_cbranch_execz .LBB6_2881
; %bb.2880:
	s_bcnt1_i32_b32 s8, s8
	s_delay_alu instid0(SALU_CYCLE_1)
	v_mov_b32_e32 v3, s8
	s_waitcnt vmcnt(0)
	global_atomic_add_u64 v[1:2], v[3:4], off offset:8
.LBB6_2881:
	s_or_b32 exec_lo, exec_lo, s7
	s_waitcnt vmcnt(0)
	global_load_b64 v[3:4], v[1:2], off offset:16
	s_waitcnt vmcnt(0)
	v_cmp_eq_u64_e32 vcc_lo, 0, v[3:4]
	s_cbranch_vccnz .LBB6_2883
; %bb.2882:
	global_load_b32 v1, v[1:2], off offset:24
	s_waitcnt vmcnt(0)
	v_dual_mov_b32 v2, 0 :: v_dual_and_b32 v5, 0xffffff, v1
	s_waitcnt_vscnt null, 0x0
	global_store_b64 v[3:4], v[1:2], off
	v_readfirstlane_b32 m0, v5
	s_sendmsg sendmsg(MSG_INTERRUPT)
.LBB6_2883:
	s_or_b32 exec_lo, exec_lo, s6
	s_branch .LBB6_2885
.LBB6_2884:
	s_branch .LBB6_2889
.LBB6_2885:                             ; =>This Inner Loop Header: Depth=1
	v_mov_b32_e32 v1, 1
	s_and_saveexec_b32 s6, s1
	s_cbranch_execz .LBB6_2887
; %bb.2886:                             ;   in Loop: Header=BB6_2885 Depth=1
	global_load_b32 v1, v[9:10], off offset:20 glc
	s_waitcnt vmcnt(0)
	buffer_gl1_inv
	buffer_gl0_inv
	v_and_b32_e32 v1, 1, v1
.LBB6_2887:                             ;   in Loop: Header=BB6_2885 Depth=1
	s_or_b32 exec_lo, exec_lo, s6
	s_delay_alu instid0(VALU_DEP_1) | instskip(NEXT) | instid1(VALU_DEP_1)
	v_readfirstlane_b32 s6, v1
	s_cmp_eq_u32 s6, 0
	s_cbranch_scc1 .LBB6_2884
; %bb.2888:                             ;   in Loop: Header=BB6_2885 Depth=1
	s_sleep 1
	s_cbranch_execnz .LBB6_2885
.LBB6_2889:
	s_and_b32 exec_lo, exec_lo, s1
	s_cbranch_execz .LBB6_2893
; %bb.2890:
	v_mov_b32_e32 v7, 0
	s_clause 0x2
	global_load_b64 v[3:4], v7, s[4:5] offset:40
	global_load_b64 v[8:9], v7, s[4:5] offset:24 glc
	global_load_b64 v[5:6], v7, s[4:5]
	s_waitcnt vmcnt(2)
	v_add_co_u32 v10, vcc_lo, v3, 1
	v_add_co_ci_u32_e32 v11, vcc_lo, 0, v4, vcc_lo
	s_delay_alu instid0(VALU_DEP_2) | instskip(NEXT) | instid1(VALU_DEP_2)
	v_add_co_u32 v1, vcc_lo, v10, s2
	v_add_co_ci_u32_e32 v2, vcc_lo, s3, v11, vcc_lo
	s_delay_alu instid0(VALU_DEP_1) | instskip(SKIP_1) | instid1(VALU_DEP_1)
	v_cmp_eq_u64_e32 vcc_lo, 0, v[1:2]
	v_dual_cndmask_b32 v2, v2, v11 :: v_dual_cndmask_b32 v1, v1, v10
	v_and_b32_e32 v4, v2, v4
	s_delay_alu instid0(VALU_DEP_2) | instskip(NEXT) | instid1(VALU_DEP_2)
	v_and_b32_e32 v3, v1, v3
	v_mul_lo_u32 v4, v4, 24
	s_delay_alu instid0(VALU_DEP_2) | instskip(SKIP_1) | instid1(VALU_DEP_2)
	v_mul_hi_u32 v10, v3, 24
	v_mul_lo_u32 v3, v3, 24
	v_add_nc_u32_e32 v4, v10, v4
	s_waitcnt vmcnt(0)
	s_delay_alu instid0(VALU_DEP_2) | instskip(SKIP_1) | instid1(VALU_DEP_3)
	v_add_co_u32 v5, vcc_lo, v5, v3
	v_mov_b32_e32 v3, v8
	v_add_co_ci_u32_e32 v6, vcc_lo, v6, v4, vcc_lo
	v_mov_b32_e32 v4, v9
	global_store_b64 v[5:6], v[8:9], off
	s_waitcnt_vscnt null, 0x0
	global_atomic_cmpswap_b64 v[3:4], v7, v[1:4], s[4:5] offset:24 glc
	s_waitcnt vmcnt(0)
	v_cmp_ne_u64_e32 vcc_lo, v[3:4], v[8:9]
	s_and_b32 exec_lo, exec_lo, vcc_lo
	s_cbranch_execz .LBB6_2893
; %bb.2891:
	s_mov_b32 s1, 0
.LBB6_2892:                             ; =>This Inner Loop Header: Depth=1
	s_sleep 1
	global_store_b64 v[5:6], v[3:4], off
	s_waitcnt_vscnt null, 0x0
	global_atomic_cmpswap_b64 v[8:9], v7, v[1:4], s[4:5] offset:24 glc
	s_waitcnt vmcnt(0)
	v_cmp_eq_u64_e32 vcc_lo, v[8:9], v[3:4]
	v_dual_mov_b32 v3, v8 :: v_dual_mov_b32 v4, v9
	s_or_b32 s1, vcc_lo, s1
	s_delay_alu instid0(SALU_CYCLE_1)
	s_and_not1_b32 exec_lo, exec_lo, s1
	s_cbranch_execnz .LBB6_2892
.LBB6_2893:
	s_or_b32 exec_lo, exec_lo, s16
	v_or_b32_e32 v0, v0, v40
	s_xor_b32 s0, s0, -1
	s_mov_b32 s19, 0
                                        ; implicit-def: $vgpr40
	s_delay_alu instid0(VALU_DEP_1) | instskip(SKIP_1) | instid1(SALU_CYCLE_1)
	v_cmp_lt_i32_e32 vcc_lo, -1, v0
	s_and_b32 s0, vcc_lo, s0
	s_and_saveexec_b32 s1, s0
	s_delay_alu instid0(SALU_CYCLE_1)
	s_xor_b32 s0, exec_lo, s1
	s_cbranch_execz .LBB6_2895
; %bb.2894:
	flat_load_b32 v0, v[44:45]
	v_lshl_or_b32 v32, v34, 1, 1
	s_mov_b32 s19, exec_lo
	s_waitcnt vmcnt(0) lgkmcnt(0)
	v_ashrrev_i32_e32 v1, 31, v0
	v_add_nc_u32_e32 v3, 1, v0
	v_lshl_or_b32 v40, v0, 1, 1
	s_delay_alu instid0(VALU_DEP_3) | instskip(NEXT) | instid1(VALU_DEP_1)
	v_lshlrev_b64 v[1:2], 3, v[0:1]
	v_add_co_u32 v1, vcc_lo, v44, v1
	s_delay_alu instid0(VALU_DEP_2)
	v_add_co_ci_u32_e32 v2, vcc_lo, v45, v2, vcc_lo
	s_clause 0x1
	flat_store_b32 v[44:45], v3
	flat_store_b64 v[1:2], v[32:33] offset:8
.LBB6_2895:
	s_or_saveexec_b32 s20, s0
	s_mov_b32 s0, s17
	s_xor_b32 exec_lo, exec_lo, s20
	s_cbranch_execz .LBB6_2897
; %bb.2896:
	s_getpc_b64 s[0:1]
	s_add_u32 s0, s0, .str.46@rel32@lo+4
	s_addc_u32 s1, s1, .str.46@rel32@hi+12
	s_getpc_b64 s[2:3]
	s_add_u32 s2, s2, .str.44@rel32@lo+4
	s_addc_u32 s3, s3, .str.44@rel32@hi+12
	s_getpc_b64 s[4:5]
	s_add_u32 s4, s4, __PRETTY_FUNCTION__._ZN8subgUtil18formAndNodeKeyFlagEiii@rel32@lo+4
	s_addc_u32 s5, s5, __PRETTY_FUNCTION__._ZN8subgUtil18formAndNodeKeyFlagEiii@rel32@hi+12
	v_dual_mov_b32 v0, s0 :: v_dual_mov_b32 v1, s1
	v_dual_mov_b32 v2, s2 :: v_dual_mov_b32 v3, s3
	;; [unrolled: 1-line block ×3, first 2 shown]
	v_mov_b32_e32 v6, s5
	s_mov_b64 s[8:9], s[44:45]
	s_getpc_b64 s[6:7]
	s_add_u32 s6, s6, __assert_fail@rel32@lo+4
	s_addc_u32 s7, s7, __assert_fail@rel32@hi+12
	s_delay_alu instid0(SALU_CYCLE_1)
	s_swappc_b64 s[30:31], s[6:7]
	s_or_b32 s0, s17, exec_lo
                                        ; implicit-def: $vgpr40
.LBB6_2897:
	s_or_b32 exec_lo, exec_lo, s20
	s_delay_alu instid0(SALU_CYCLE_1) | instskip(SKIP_1) | instid1(SALU_CYCLE_1)
	s_and_not1_b32 s1, s17, exec_lo
	s_and_b32 s0, s0, exec_lo
	s_or_b32 s17, s1, s0
	s_and_b32 s1, s19, exec_lo
.LBB6_2898:
	s_or_b32 exec_lo, exec_lo, s18
	s_delay_alu instid0(SALU_CYCLE_1)
	s_and_not1_b32 s0, s38, exec_lo
	s_and_b32 s2, s17, exec_lo
	s_or_not1_b32 s1, s1, exec_lo
	s_or_b32 s0, s0, s2
.LBB6_2899:
	s_or_b32 exec_lo, exec_lo, s40
	s_delay_alu instid0(SALU_CYCLE_1) | instskip(SKIP_4) | instid1(VALU_DEP_1)
	s_and_b32 s3, s0, exec_lo
	v_readlane_b32 s0, v56, 13
	s_and_not1_b32 s2, s38, exec_lo
	s_and_b32 s1, s1, exec_lo
	s_or_b32 s18, s2, s3
	s_and_not1_b32 s0, s0, exec_lo
	s_delay_alu instid0(SALU_CYCLE_1)
	s_or_b32 s17, s0, s1
.LBB6_2900:
	s_and_not1_saveexec_b32 s19, s39
	s_cbranch_execz .LBB6_2902
; %bb.2901:
	s_getpc_b64 s[0:1]
	s_add_u32 s0, s0, .str.46@rel32@lo+4
	s_addc_u32 s1, s1, .str.46@rel32@hi+12
	s_getpc_b64 s[2:3]
	s_add_u32 s2, s2, .str.44@rel32@lo+4
	s_addc_u32 s3, s3, .str.44@rel32@hi+12
	s_getpc_b64 s[4:5]
	s_add_u32 s4, s4, __PRETTY_FUNCTION__._ZN8subgUtil18formAndNodeKeyFlagEiii@rel32@lo+4
	s_addc_u32 s5, s5, __PRETTY_FUNCTION__._ZN8subgUtil18formAndNodeKeyFlagEiii@rel32@hi+12
	v_dual_mov_b32 v0, s0 :: v_dual_mov_b32 v1, s1
	v_dual_mov_b32 v2, s2 :: v_dual_mov_b32 v3, s3
	;; [unrolled: 1-line block ×3, first 2 shown]
	v_mov_b32_e32 v6, s5
	s_mov_b64 s[8:9], s[44:45]
	s_getpc_b64 s[6:7]
	s_add_u32 s6, s6, __assert_fail@rel32@lo+4
	s_addc_u32 s7, s7, __assert_fail@rel32@hi+12
	s_delay_alu instid0(SALU_CYCLE_1)
	s_swappc_b64 s[30:31], s[6:7]
	s_or_b32 s18, s18, exec_lo
                                        ; implicit-def: $vgpr40
.LBB6_2902:
	s_or_b32 exec_lo, exec_lo, s19
	v_readlane_b32 s41, v56, 13
	s_and_not1_b32 s0, s38, exec_lo
	s_and_b32 s1, s18, exec_lo
	v_readlane_b32 s38, v56, 14
	s_or_b32 s0, s0, s1
	v_readlane_b32 s1, v56, 15
	s_and_not1_b32 s2, s41, exec_lo
	s_and_b32 s3, s17, exec_lo
	s_delay_alu instid0(SALU_CYCLE_1)
	s_or_b32 s2, s2, s3
.LBB6_2903:
	s_delay_alu instid0(VALU_DEP_1) | instskip(NEXT) | instid1(SALU_CYCLE_1)
	s_or_b32 exec_lo, exec_lo, s1
	s_and_not1_b32 s1, s38, exec_lo
	s_and_b32 s0, s0, exec_lo
	v_readlane_b32 s22, v56, 11
	s_or_b32 s38, s1, s0
	v_readlane_b32 s18, v56, 10
	v_readlane_b32 s23, v56, 9
	v_readlane_b32 s25, v56, 7
	v_readlane_b32 s28, v56, 5
	s_mov_b32 s29, s37
	v_readlane_b32 s20, v56, 3
	v_readlane_b32 s37, v56, 17
	v_readlane_b32 s39, v56, 18
	v_readlane_b32 s40, v56, 19
	v_readlane_b32 s42, v56, 20
	v_readlane_b32 s27, v56, 22
	v_readlane_b32 s0, v56, 21
	s_and_not1_b32 s3, s41, exec_lo
	s_and_b32 s2, s2, exec_lo
	s_mov_b32 s21, s34
	s_or_b32 s41, s3, s2
	s_mov_b32 s24, s35
	s_mov_b32 s19, s36
	;; [unrolled: 1-line block ×5, first 2 shown]
.LBB6_2904:
	s_or_b32 exec_lo, exec_lo, s0
	s_delay_alu instid0(SALU_CYCLE_1) | instskip(SKIP_1) | instid1(SALU_CYCLE_1)
	s_and_not1_b32 s0, s27, exec_lo
	s_and_b32 s1, s38, exec_lo
	s_or_b32 s27, s0, s1
	s_and_b32 s1, s41, exec_lo
	v_readlane_b32 s0, v56, 16
.LBB6_2905:
	s_delay_alu instid0(VALU_DEP_1) | instskip(NEXT) | instid1(SALU_CYCLE_1)
	s_or_b32 exec_lo, exec_lo, s0
	s_and_not1_b32 s0, s52, exec_lo
	s_and_b32 s2, s27, exec_lo
	s_and_b32 s1, s1, exec_lo
	s_or_b32 s52, s0, s2
.LBB6_2906:
	s_or_b32 exec_lo, exec_lo, s42
	s_delay_alu instid0(SALU_CYCLE_1)
	s_and_not1_b32 s0, s17, exec_lo
	s_and_b32 s2, s52, exec_lo
	s_and_b32 s26, s1, exec_lo
	s_or_b32 s27, s0, s2
	s_or_b32 exec_lo, exec_lo, s40
	s_and_saveexec_b32 s0, s51
	s_delay_alu instid0(SALU_CYCLE_1)
	s_xor_b32 s38, exec_lo, s0
	s_cbranch_execnz .LBB6_742
	s_branch .LBB6_743
.Lfunc_end6:
	.size	_ZN3sop12sopFactorRecEPNS_3SopEiP7VecsMemIjLi8192EEPN8subgUtil4SubgILi256EEE, .Lfunc_end6-_ZN3sop12sopFactorRecEPNS_3SopEiP7VecsMemIjLi8192EEPN8subgUtil4SubgILi256EEE
                                        ; -- End function
	.section	.AMDGPU.csdata,"",@progbits
; Function info:
; codeLenInByte = 114684
; NumSgprs: 58
; NumVgprs: 74
; ScratchSize: 336
; MemoryBound: 0
	.text
	.protected	_Z8resynCutPKiS0_S0_S0_PKyPKjiS0_PyPiS6_S6_PjS0_S4_ii ; -- Begin function _Z8resynCutPKiS0_S0_S0_PKyPKjiS0_PyPiS6_S6_PjS0_S4_ii
	.globl	_Z8resynCutPKiS0_S0_S0_PKyPKjiS0_PyPiS6_S6_PjS0_S4_ii
	.p2align	8
	.type	_Z8resynCutPKiS0_S0_S0_PKyPKjiS0_PyPiS6_S6_PjS0_S4_ii,@function
_Z8resynCutPKiS0_S0_S0_PKyPKjiS0_PyPiS6_S6_PjS0_S4_ii: ; @_Z8resynCutPKiS0_S0_S0_PKyPKjiS0_PyPiS6_S6_PjS0_S4_ii
; %bb.0:
	s_clause 0x1
	s_load_b32 s5, s[2:3], 0x8c
	s_load_b32 s7, s[2:3], 0x7c
                                        ; implicit-def: $vgpr123 : SGPR spill to VGPR lane
	s_add_u32 s8, s2, 0x80
	v_writelane_b32 v123, s2, 0
	v_dual_mov_b32 v72, 0 :: v_dual_and_b32 v1, 0x3ff, v0
	s_addc_u32 s9, s3, 0
	s_mov_b32 s4, -1
	v_writelane_b32 v123, s3, 1
	s_movk_i32 s3, 0x1010
	s_mov_b32 s6, 0
	s_mov_b32 s47, 0
	;; [unrolled: 1-line block ×3, first 2 shown]
	v_writelane_b32 v123, s8, 2
	s_mov_b32 s45, 0
	s_mov_b32 s44, 0
	;; [unrolled: 1-line block ×6, first 2 shown]
	s_waitcnt lgkmcnt(0)
	s_and_b32 s2, s5, 0xffff
	s_mov_b32 s40, 0
	v_mad_u64_u32 v[88:89], null, s15, s2, v[1:2]
	s_mov_b32 s38, 0
	s_mov_b32 s37, 0
	;; [unrolled: 1-line block ×5, first 2 shown]
	scratch_store_b32 off, v72, s3
	s_mov_b32 s29, 0
	s_mov_b32 s28, 0
	;; [unrolled: 1-line block ×14, first 2 shown]
	s_mov_b32 s48, exec_lo
	s_mov_b32 s32, 0xa030
	v_writelane_b32 v123, s9, 3
	s_clause 0x1
	scratch_store_b32 off, v72, s3
	scratch_store_b32 off, v72, s3 offset:2056
	v_cmpx_gt_i32_e64 s7, v88
	s_cbranch_execz .LBB7_328
; %bb.1:
	v_writelane_b32 v123, s48, 4
	s_load_b64 s[0:1], s[0:1], 0x4
	v_bfe_u32 v2, v0, 10, 10
                                        ; implicit-def: $vgpr122 : SGPR spill to VGPR lane
	v_bfe_u32 v0, v0, 20, 10
	v_add_nc_u32_e64 v61, 0x9018, 8
	v_readlane_b32 s4, v123, 0
	v_readlane_b32 s5, v123, 1
	v_add_nc_u32_e64 v62, 0x9820, 8
	v_add_nc_u32_e64 v63, 0xc10, -4
	v_add_nc_u32_e64 v74, 0x410, -4
	v_dual_mov_b32 v90, 3 :: v_dual_mov_b32 v91, 1
	s_load_b256 s[8:15], s[4:5], 0x0
                                        ; implicit-def: $sgpr86
                                        ; implicit-def: $sgpr63
                                        ; implicit-def: $sgpr62
                                        ; implicit-def: $sgpr83
                                        ; implicit-def: $sgpr82
                                        ; implicit-def: $sgpr81
                                        ; implicit-def: $sgpr80
                                        ; implicit-def: $sgpr98
                                        ; implicit-def: $sgpr79
                                        ; implicit-def: $sgpr78
                                        ; implicit-def: $sgpr77
                                        ; implicit-def: $sgpr76
                                        ; implicit-def: $sgpr75
                                        ; implicit-def: $sgpr88
                                        ; implicit-def: $sgpr89
                                        ; implicit-def: $vgpr75
                                        ; implicit-def: $vgpr76
	s_waitcnt lgkmcnt(0)
	s_lshr_b32 s0, s0, 16
	s_delay_alu instid0(SALU_CYCLE_1) | instskip(NEXT) | instid1(SALU_CYCLE_1)
	s_mul_i32 s0, s0, s1
	v_mul_lo_u32 v1, s0, v1
	s_lshl_b32 s0, s7, 1
	s_delay_alu instid0(SALU_CYCLE_1) | instskip(SKIP_1) | instid1(VALU_DEP_2)
	s_add_i32 s0, s0, -1
	v_writelane_b32 v123, s8, 5
	v_mad_u32_u24 v1, v2, s1, v1
	v_writelane_b32 v123, s9, 6
	s_delay_alu instid0(VALU_DEP_2) | instskip(SKIP_1) | instid1(VALU_DEP_2)
	v_add_lshl_u32 v44, v1, v0, 4
	v_writelane_b32 v123, s10, 7
	v_add_nc_u32_e32 v46, 0xc000, v44
	v_add_nc_u32_e32 v47, 0x8000, v44
	;; [unrolled: 1-line block ×3, first 2 shown]
	v_writelane_b32 v123, s11, 8
	v_writelane_b32 v123, s12, 9
	;; [unrolled: 1-line block ×5, first 2 shown]
	s_load_b128 s[8:11], s[4:5], 0x20
	s_waitcnt lgkmcnt(0)
	v_writelane_b32 v123, s8, 13
	v_writelane_b32 v123, s9, 14
	;; [unrolled: 1-line block ×4, first 2 shown]
	s_clause 0x1
	s_load_b32 s6, s[4:5], 0x30
	s_load_b256 s[8:15], s[4:5], 0x38
	s_waitcnt lgkmcnt(0)
	v_writelane_b32 v123, s8, 17
	v_writelane_b32 v123, s9, 18
	;; [unrolled: 1-line block ×8, first 2 shown]
	s_clause 0x1
	s_load_b64 s[8:9], s[4:5], 0x68
	s_load_b128 s[12:15], s[4:5], 0x58
	s_mov_b64 s[10:11], src_private_base
	s_delay_alu instid0(SALU_CYCLE_1) | instskip(NEXT) | instid1(SALU_CYCLE_1)
	s_mov_b32 s1, s11
	v_writelane_b32 v122, s1, 0
	v_writelane_b32 v122, s0, 1
	s_waitcnt lgkmcnt(0)
	v_writelane_b32 v123, s12, 25
	v_writelane_b32 v123, s13, 26
	;; [unrolled: 1-line block ×4, first 2 shown]
	s_delay_alu instid0(VALU_DEP_1)
	v_readlane_b32 s4, v123, 2
	v_readlane_b32 s5, v123, 3
	s_load_b32 s3, s[4:5], 0x0
	s_mov_b64 s[4:5], src_shared_base
	s_add_i32 s4, 0x1010, 4
	v_dual_mov_b32 v40, s5 :: v_dual_mov_b32 v41, s5
	v_writelane_b32 v123, s4, 29
	v_dual_mov_b32 v42, s5 :: v_dual_mov_b32 v45, s5
	s_mov_b32 s4, s11
	v_writelane_b32 v123, s7, 30
	s_ashr_i32 s7, s6, 31
	v_writelane_b32 v122, s6, 2
	v_writelane_b32 v123, s4, 31
	;; [unrolled: 1-line block ×3, first 2 shown]
	s_waitcnt lgkmcnt(0)
	s_mul_i32 s0, s3, s2
	s_delay_alu instid0(SALU_CYCLE_1) | instskip(SKIP_1) | instid1(SALU_CYCLE_1)
	v_writelane_b32 v122, s0, 4
	s_add_u32 s0, s8, -4
	v_writelane_b32 v122, s0, 5
	s_mov_b32 s0, 0
	s_mov_b32 s1, 2
	;; [unrolled: 1-line block ×3, first 2 shown]
                                        ; implicit-def: $sgpr0
                                        ; kill: killed $sgpr0
                                        ; implicit-def: $sgpr0
                                        ; kill: killed $sgpr0
	;; [unrolled: 2-line block ×3, first 2 shown]
                                        ; implicit-def: $sgpr0
	v_writelane_b32 v122, s8, 6
                                        ; kill: killed $sgpr0
                                        ; implicit-def: $sgpr0
                                        ; kill: killed $sgpr0
                                        ; implicit-def: $sgpr0
	;; [unrolled: 2-line block ×5, first 2 shown]
	v_writelane_b32 v122, s9, 7
                                        ; kill: killed $sgpr0
                                        ; implicit-def: $sgpr0
                                        ; kill: killed $sgpr0
                                        ; implicit-def: $sgpr0
	;; [unrolled: 2-line block ×3, first 2 shown]
	s_addc_u32 s1, s9, -1
                                        ; kill: killed $sgpr0
                                        ; implicit-def: $sgpr0
                                        ; kill: killed $sgpr0
                                        ; implicit-def: $sgpr0
	s_delay_alu instid0(SALU_CYCLE_1)
	v_writelane_b32 v122, s1, 8
                                        ; kill: killed $sgpr0
                                        ; implicit-def: $sgpr0
                                        ; kill: killed $sgpr0
	s_branch .LBB7_15
.LBB7_2:                                ;   in Loop: Header=BB7_15 Depth=1
	s_or_b32 exec_lo, exec_lo, s64
	s_delay_alu instid0(SALU_CYCLE_1)
	s_and_not1_b32 s28, s28, exec_lo
	s_and_b32 s34, s34, exec_lo
	s_and_not1_b32 s26, s26, exec_lo
	s_and_b32 s24, s24, exec_lo
	s_or_b32 s28, s28, s34
	s_and_not1_b32 s25, s25, exec_lo
	s_and_b32 s34, s35, exec_lo
	s_or_b32 s26, s26, s24
	;; [unrolled: 3-line block ×3, first 2 shown]
	s_and_not1_b32 s34, vcc_hi, exec_lo
	s_and_b32 s22, s22, exec_lo
	s_or_b32 s55, s24, s33
	s_and_not1_b32 s24, s54, exec_lo
	s_and_b32 s20, s20, exec_lo
	s_or_b32 vcc_hi, s34, s22
	s_and_not1_b32 s22, s52, exec_lo
	s_and_b32 s23, s23, exec_lo
	s_or_b32 s54, s24, s20
	s_and_not1_b32 s20, s50, exec_lo
	s_and_b32 s21, s21, exec_lo
	s_or_b32 s52, s22, s23
	;; [unrolled: 3-line block ×13, first 2 shown]
	s_and_not1_b32 s8, s101, exec_lo
	s_and_b32 s9, s9, exec_lo
	s_and_not1_b32 s29, s29, exec_lo
	s_and_b32 s58, s58, exec_lo
	;; [unrolled: 2-line block ×3, first 2 shown]
	s_or_b32 s103, s10, s11
	s_and_not1_b32 s10, s102, exec_lo
	s_and_b32 s6, s6, exec_lo
	s_or_b32 s101, s8, s9
	s_and_not1_b32 s8, s100, exec_lo
	s_and_b32 s4, s4, exec_lo
	;; [unrolled: 3-line block ×6, first 2 shown]
	s_and_not1_b32 s2, s2, exec_lo
	s_and_b32 s0, s0, exec_lo
	s_or_b32 s30, s30, s58
	s_or_b32 s27, s27, s57
	;; [unrolled: 1-line block ×5, first 2 shown]
	s_or_not1_b32 s0, s3, exec_lo
.LBB7_3:                                ;   in Loop: Header=BB7_15 Depth=1
	s_or_b32 exec_lo, exec_lo, s41
	v_readlane_b32 s3, v110, 13
	s_and_b32 s4, s29, exec_lo
	s_and_b32 s6, s31, exec_lo
	;; [unrolled: 1-line block ×4, first 2 shown]
	s_and_not1_b32 s3, s3, exec_lo
	s_or_not1_b32 s0, s0, exec_lo
	s_or_b32 s3, s3, s4
	s_and_b32 s4, s30, exec_lo
	v_writelane_b32 v110, s3, 13
	s_delay_alu instid0(VALU_DEP_1) | instskip(SKIP_1) | instid1(VALU_DEP_2)
	v_readlane_b32 s3, v110, 12
	v_readlane_b32 s5, v110, 11
	s_and_not1_b32 s3, s3, exec_lo
	s_delay_alu instid0(VALU_DEP_1)
	s_and_not1_b32 s5, s5, exec_lo
	s_or_b32 s3, s3, s4
	s_and_b32 s4, s27, exec_lo
	v_writelane_b32 v110, s3, 12
	s_or_b32 s3, s5, s6
	v_readlane_b32 s5, v109, 7
	s_and_b32 s6, s28, exec_lo
	v_writelane_b32 v110, s3, 11
	s_delay_alu instid0(VALU_DEP_2) | instskip(NEXT) | instid1(SALU_CYCLE_1)
	s_and_not1_b32 s5, s5, exec_lo
	s_or_b32 s28, s5, s6
	s_delay_alu instid0(VALU_DEP_1) | instskip(SKIP_2) | instid1(VALU_DEP_2)
	v_readlane_b32 s3, v110, 17
	v_readlane_b32 s5, v109, 5
	s_and_b32 s6, s26, exec_lo
	s_and_not1_b32 s3, s3, exec_lo
	s_delay_alu instid0(VALU_DEP_1)
	s_and_not1_b32 s5, s5, exec_lo
	s_or_b32 s8, s3, s4
	v_readlane_b32 s3, v109, 6
	s_and_b32 s4, s25, exec_lo
	s_or_b32 s26, s5, s6
	v_readlane_b32 s5, v109, 3
	s_and_b32 s6, vcc_hi, exec_lo
	s_and_not1_b32 s3, s3, exec_lo
	s_delay_alu instid0(SALU_CYCLE_1) | instskip(SKIP_3) | instid1(SALU_CYCLE_1)
	s_or_b32 s25, s3, s4
	v_readlane_b32 s3, v109, 4
	s_and_b32 s4, s55, exec_lo
	s_and_not1_b32 s5, s5, exec_lo
	s_or_b32 vcc_hi, s5, s6
	s_delay_alu instid0(VALU_DEP_1)
	s_and_not1_b32 s3, s3, exec_lo
	v_readlane_b32 s5, v109, 1
	s_or_b32 s55, s3, s4
	v_readlane_b32 s3, v109, 2
	s_and_b32 s4, s52, exec_lo
	s_and_b32 s6, s54, exec_lo
	s_and_not1_b32 s5, s5, exec_lo
	s_delay_alu instid0(VALU_DEP_1)
	s_and_not1_b32 s3, s3, exec_lo
	s_or_b32 s54, s5, s6
	s_or_b32 s52, s3, s4
	v_readlane_b32 s3, v109, 0
	s_and_b32 s4, s50, exec_lo
	v_readlane_b32 s5, v110, 31
	s_and_b32 s6, s51, exec_lo
	s_delay_alu instid0(VALU_DEP_2) | instskip(NEXT) | instid1(SALU_CYCLE_1)
	s_and_not1_b32 s3, s3, exec_lo
	s_or_b32 s50, s3, s4
	v_readlane_b32 s3, v110, 30
	s_and_not1_b32 s5, s5, exec_lo
	s_and_b32 s4, s48, exec_lo
	s_or_b32 s51, s5, s6
	v_readlane_b32 s5, v110, 29
	s_and_not1_b32 s3, s3, exec_lo
	s_and_b32 s6, s49, exec_lo
	;; [unrolled: 4-line block ×14, first 2 shown]
	s_or_b32 s99, s3, s4
	v_readlane_b32 s4, v109, 9
	s_and_not1_b32 s5, s5, exec_lo
	s_and_not1_b32 s3, s40, exec_lo
	s_or_b32 s6, s5, s6
	s_or_b32 s40, s3, s1
	s_and_not1_b32 s4, s4, exec_lo
	s_delay_alu instid0(SALU_CYCLE_1)
	s_or_b32 s5, s4, s2
.LBB7_4:                                ;   in Loop: Header=BB7_15 Depth=1
	s_delay_alu instid0(VALU_DEP_1) | instskip(NEXT) | instid1(VALU_DEP_1)
	v_readlane_b32 s1, v110, 16
	s_or_b32 exec_lo, exec_lo, s1
	v_readlane_b32 s1, v111, 13
	v_readlane_b32 s2, v110, 13
	;; [unrolled: 1-line block ×3, first 2 shown]
	s_delay_alu instid0(VALU_DEP_3) | instskip(NEXT) | instid1(VALU_DEP_2)
	s_and_not1_b32 s1, s1, exec_lo
	s_and_b32 s2, s2, exec_lo
	s_delay_alu instid0(VALU_DEP_1) | instskip(SKIP_3) | instid1(VALU_DEP_2)
	s_and_b32 s4, s4, exec_lo
	s_or_b32 s1, s1, s2
	v_readlane_b32 s2, v110, 12
	v_writelane_b32 v111, s1, 13
	s_and_b32 s2, s2, exec_lo
	s_delay_alu instid0(VALU_DEP_1) | instskip(SKIP_1) | instid1(VALU_DEP_2)
	v_readlane_b32 s1, v111, 14
	v_readlane_b32 s3, v111, 15
	s_and_not1_b32 s1, s1, exec_lo
	s_delay_alu instid0(VALU_DEP_1)
	s_and_not1_b32 s3, s3, exec_lo
	s_or_b32 s1, s1, s2
	s_and_b32 s2, s8, exec_lo
	v_writelane_b32 v111, s1, 14
	s_or_b32 s1, s3, s4
	s_and_b32 s4, s28, exec_lo
	v_writelane_b32 v111, s1, 15
	s_delay_alu instid0(VALU_DEP_1) | instskip(SKIP_1) | instid1(VALU_DEP_2)
	v_readlane_b32 s1, v111, 16
	v_readlane_b32 s3, v111, 17
	s_and_not1_b32 s1, s1, exec_lo
	s_delay_alu instid0(VALU_DEP_1)
	s_and_not1_b32 s3, s3, exec_lo
	s_or_b32 s1, s1, s2
	s_and_b32 s2, s25, exec_lo
	v_writelane_b32 v111, s1, 16
	s_or_b32 s1, s3, s4
	s_and_b32 s4, s26, exec_lo
	v_writelane_b32 v111, s1, 17
	s_delay_alu instid0(VALU_DEP_1) | instskip(SKIP_1) | instid1(VALU_DEP_2)
	v_readlane_b32 s1, v111, 18
	v_readlane_b32 s3, v111, 19
	s_and_not1_b32 s1, s1, exec_lo
	s_delay_alu instid0(VALU_DEP_1)
	s_and_not1_b32 s3, s3, exec_lo
	s_or_b32 s1, s1, s2
	s_and_b32 s2, s55, exec_lo
	v_writelane_b32 v111, s1, 18
	s_or_b32 s1, s3, s4
	s_and_b32 s4, vcc_hi, exec_lo
	v_writelane_b32 v111, s1, 19
	s_delay_alu instid0(VALU_DEP_1) | instskip(SKIP_1) | instid1(VALU_DEP_2)
	v_readlane_b32 s1, v111, 20
	v_readlane_b32 s3, v111, 21
	s_and_not1_b32 s1, s1, exec_lo
	s_delay_alu instid0(VALU_DEP_1)
	s_and_not1_b32 s3, s3, exec_lo
	s_or_b32 s1, s1, s2
	s_and_b32 s2, s52, exec_lo
	v_writelane_b32 v111, s1, 20
	s_or_b32 s1, s3, s4
	s_and_b32 s4, s54, exec_lo
	v_writelane_b32 v111, s1, 21
	s_delay_alu instid0(VALU_DEP_1) | instskip(SKIP_1) | instid1(VALU_DEP_2)
	v_readlane_b32 s1, v111, 22
	v_readlane_b32 s3, v111, 23
	s_and_not1_b32 s1, s1, exec_lo
	s_delay_alu instid0(VALU_DEP_1)
	s_and_not1_b32 s3, s3, exec_lo
	s_or_b32 s1, s1, s2
	s_and_b32 s2, s50, exec_lo
	v_writelane_b32 v111, s1, 22
	s_or_b32 s1, s3, s4
	s_and_b32 s4, s51, exec_lo
	;; [unrolled: 12-line block ×5, first 2 shown]
	v_writelane_b32 v111, s1, 29
	s_delay_alu instid0(VALU_DEP_1) | instskip(SKIP_1) | instid1(VALU_DEP_2)
	v_readlane_b32 s1, v111, 30
	v_readlane_b32 s3, v111, 31
	s_and_not1_b32 s1, s1, exec_lo
	s_delay_alu instid0(VALU_DEP_1)
	s_and_not1_b32 s3, s3, exec_lo
	s_or_b32 s1, s1, s2
	s_and_b32 s2, s94, exec_lo
	v_writelane_b32 v111, s1, 30
	s_or_b32 s1, s3, s4
	v_readlane_b32 s3, v110, 1
	s_and_b32 s4, s7, exec_lo
	v_writelane_b32 v111, s1, 31
	v_readlane_b32 s1, v110, 0
	s_delay_alu instid0(VALU_DEP_3) | instskip(NEXT) | instid1(VALU_DEP_1)
	s_and_not1_b32 s3, s3, exec_lo
	s_and_not1_b32 s1, s1, exec_lo
	s_delay_alu instid0(SALU_CYCLE_1)
	s_or_b32 s1, s1, s2
	s_and_b32 s2, s103, exec_lo
	v_writelane_b32 v110, s1, 0
	s_or_b32 s1, s3, s4
	s_and_b32 s4, s104, exec_lo
	v_writelane_b32 v110, s1, 1
	s_delay_alu instid0(VALU_DEP_1) | instskip(SKIP_1) | instid1(VALU_DEP_2)
	v_readlane_b32 s1, v110, 2
	v_readlane_b32 s3, v110, 3
	s_and_not1_b32 s1, s1, exec_lo
	s_delay_alu instid0(VALU_DEP_1)
	s_and_not1_b32 s3, s3, exec_lo
	s_or_b32 s1, s1, s2
	s_and_b32 s2, s101, exec_lo
	v_writelane_b32 v110, s1, 2
	s_or_b32 s1, s3, s4
	s_and_b32 s4, s102, exec_lo
	v_writelane_b32 v110, s1, 3
	s_delay_alu instid0(VALU_DEP_1) | instskip(SKIP_1) | instid1(VALU_DEP_2)
	v_readlane_b32 s1, v110, 4
	v_readlane_b32 s3, v110, 5
	s_and_not1_b32 s1, s1, exec_lo
	s_delay_alu instid0(VALU_DEP_1)
	s_and_not1_b32 s3, s3, exec_lo
	;; [unrolled: 12-line block ×4, first 2 shown]
	s_or_b32 s1, s1, s2
	s_or_b32 s4, s3, s4
	v_writelane_b32 v110, s1, 8
	s_or_not1_b32 s1, s0, exec_lo
.LBB7_5:                                ;   in Loop: Header=BB7_15 Depth=1
	s_delay_alu instid0(VALU_DEP_1) | instskip(NEXT) | instid1(VALU_DEP_1)
	v_readlane_b32 s0, v110, 9
	s_or_b32 exec_lo, exec_lo, s0
	v_readlane_b32 s2, v111, 13
	s_and_not1_b32 s0, s53, exec_lo
	v_readlane_b32 s3, v111, 15
	v_readlane_b32 s20, v110, 7
	s_mov_b32 s29, s4
	s_and_b32 s2, s2, exec_lo
	s_and_b32 s29, s29, exec_lo
	s_or_b32 s53, s0, s2
	v_readlane_b32 s2, v111, 14
	s_and_not1_b32 s0, s56, exec_lo
	s_and_b32 s3, s3, exec_lo
	s_and_b32 s20, s20, exec_lo
	s_or_b32 s26, s0, s3
	s_and_b32 s2, s2, exec_lo
	v_readlane_b32 s3, v111, 17
	s_or_b32 s28, s0, s2
	v_readlane_b32 s2, v111, 16
	s_or_b32 s56, s0, s29
	s_delay_alu instid0(VALU_DEP_2) | instskip(NEXT) | instid1(VALU_DEP_1)
	s_and_b32 s3, s3, exec_lo
	s_and_b32 s2, s2, exec_lo
	s_or_b32 s24, s0, s3
	s_or_b32 s27, s0, s2
	v_readlane_b32 s2, v111, 18
	v_readlane_b32 s3, v111, 19
	s_delay_alu instid0(VALU_DEP_2) | instskip(NEXT) | instid1(VALU_DEP_1)
	s_and_b32 s2, s2, exec_lo
	s_and_b32 s3, s3, exec_lo
	s_or_b32 s25, s0, s2
	v_readlane_b32 s2, v111, 20
	s_or_b32 s21, s0, s3
	v_readlane_b32 s3, v111, 21
	s_delay_alu instid0(VALU_DEP_2) | instskip(NEXT) | instid1(SALU_CYCLE_1)
	s_and_b32 s2, s2, exec_lo
	s_or_b32 s23, s0, s2
	v_readlane_b32 s2, v111, 22
	s_delay_alu instid0(VALU_DEP_2) | instskip(NEXT) | instid1(SALU_CYCLE_1)
	s_and_b32 s3, s3, exec_lo
	;; [unrolled: 4-line block ×18, first 2 shown]
	s_or_b32 s3, s0, s3
	s_delay_alu instid0(VALU_DEP_1) | instskip(NEXT) | instid1(SALU_CYCLE_1)
	s_and_b32 s2, s2, exec_lo
	s_or_b32 s4, s0, s2
	s_or_b32 s2, s0, s20
	v_readlane_b32 s20, v110, 8
	s_delay_alu instid0(VALU_DEP_1) | instskip(NEXT) | instid1(SALU_CYCLE_1)
	s_and_b32 s20, s20, exec_lo
	s_or_b32 s20, s0, s20
	s_or_not1_b32 s0, s1, exec_lo
.LBB7_6:                                ;   in Loop: Header=BB7_15 Depth=1
	s_delay_alu instid0(VALU_DEP_1) | instskip(NEXT) | instid1(VALU_DEP_1)
	v_readlane_b32 s1, v111, 12
	s_or_b32 exec_lo, exec_lo, s1
	s_delay_alu instid0(SALU_CYCLE_1)
	s_and_b32 s31, s53, exec_lo
	s_and_b32 s30, s28, exec_lo
	;; [unrolled: 1-line block ×16, first 2 shown]
	s_or_not1_b32 s13, s10, exec_lo
	s_and_b32 s12, s12, exec_lo
	s_and_b32 s11, s9, exec_lo
	;; [unrolled: 1-line block ×12, first 2 shown]
	s_or_not1_b32 s0, s0, exec_lo
.LBB7_7:                                ;   in Loop: Header=BB7_15 Depth=1
	s_delay_alu instid0(VALU_DEP_1) | instskip(NEXT) | instid1(VALU_DEP_1)
	v_readlane_b32 s20, v111, 11
	s_or_b32 exec_lo, exec_lo, s20
	v_readlane_b32 s20, v120, 16
	s_and_b32 s22, s31, exec_lo
	s_and_b32 s29, s29, exec_lo
	;; [unrolled: 1-line block ×4, first 2 shown]
	s_and_not1_b32 s20, s20, exec_lo
	s_and_b32 s23, s23, exec_lo
	s_or_b32 s20, s20, s22
	s_and_b32 s22, s30, exec_lo
	v_writelane_b32 v120, s20, 16
	s_and_b32 s21, s21, exec_lo
	s_and_b32 s19, s19, exec_lo
	s_and_b32 s18, s18, exec_lo
	s_and_b32 s17, s17, exec_lo
	v_readlane_b32 s20, v120, 15
	v_readlane_b32 s30, v120, 14
	s_and_b32 s16, s16, exec_lo
	s_and_b32 s15, s15, exec_lo
	;; [unrolled: 1-line block ×3, first 2 shown]
	s_and_not1_b32 s20, s20, exec_lo
	s_and_not1_b32 s30, s30, exec_lo
	s_or_b32 s20, s20, s22
	s_and_b32 s22, s28, exec_lo
	v_writelane_b32 v120, s20, 15
	s_or_b32 s20, s30, s29
	s_and_b32 s13, s13, exec_lo
	s_and_b32 s12, s12, exec_lo
	;; [unrolled: 1-line block ×3, first 2 shown]
	v_writelane_b32 v120, s20, 14
	s_and_b32 s10, s10, exec_lo
	s_and_b32 s9, s9, exec_lo
	s_and_b32 s8, s8, exec_lo
	s_and_b32 s7, s7, exec_lo
	v_readlane_b32 s20, v120, 13
	v_readlane_b32 s28, v120, 12
	s_and_b32 s6, s6, exec_lo
	s_and_b32 s5, s5, exec_lo
	;; [unrolled: 1-line block ×3, first 2 shown]
	s_and_not1_b32 s20, s20, exec_lo
	s_and_not1_b32 s28, s28, exec_lo
	s_or_b32 s20, s20, s22
	s_and_b32 s22, s26, exec_lo
	v_writelane_b32 v120, s20, 13
	s_or_b32 s20, s28, s27
	s_and_b32 s3, s3, exec_lo
	s_and_b32 s2, s2, exec_lo
	;; [unrolled: 1-line block ×3, first 2 shown]
	v_writelane_b32 v120, s20, 12
	s_or_not1_b32 s0, s0, exec_lo
	s_delay_alu instid0(VALU_DEP_1) | instskip(SKIP_1) | instid1(VALU_DEP_2)
	v_readlane_b32 s20, v120, 11
	v_readlane_b32 s26, v120, 18
	s_and_not1_b32 s20, s20, exec_lo
	s_delay_alu instid0(VALU_DEP_1) | instskip(SKIP_4) | instid1(SALU_CYCLE_1)
	s_and_not1_b32 s26, s26, exec_lo
	s_or_b32 s20, s20, s22
	s_and_b32 s22, s24, exec_lo
	v_writelane_b32 v120, s20, 11
	s_or_b32 s20, s26, s25
	v_writelane_b32 v120, s20, 18
	s_delay_alu instid0(VALU_DEP_1) | instskip(SKIP_1) | instid1(VALU_DEP_2)
	v_readlane_b32 s20, v120, 10
	v_readlane_b32 s24, v120, 9
	s_and_not1_b32 s20, s20, exec_lo
	s_delay_alu instid0(VALU_DEP_1) | instskip(SKIP_1) | instid1(SALU_CYCLE_1)
	s_and_not1_b32 s24, s24, exec_lo
	s_or_b32 s20, s20, s22
	v_writelane_b32 v120, s20, 10
	s_or_b32 s20, s24, s23
	s_delay_alu instid0(SALU_CYCLE_1) | instskip(NEXT) | instid1(VALU_DEP_1)
	v_writelane_b32 v120, s20, 9
	v_readlane_b32 s20, v120, 8
	v_readlane_b32 s22, v120, 7
	s_delay_alu instid0(VALU_DEP_2) | instskip(NEXT) | instid1(VALU_DEP_1)
	s_and_not1_b32 s20, s20, exec_lo
	s_and_not1_b32 s22, s22, exec_lo
	s_or_b32 s20, s20, s21
	s_or_b32 s19, s22, s19
	v_writelane_b32 v120, s20, 8
	v_writelane_b32 v120, s19, 7
	s_delay_alu instid0(VALU_DEP_1) | instskip(SKIP_1) | instid1(VALU_DEP_2)
	v_readlane_b32 s19, v120, 6
	v_readlane_b32 s20, v120, 19
	s_and_not1_b32 s19, s19, exec_lo
	s_delay_alu instid0(VALU_DEP_1) | instskip(SKIP_4) | instid1(VALU_DEP_1)
	s_and_not1_b32 s20, s20, exec_lo
	s_or_b32 s18, s19, s18
	s_or_b32 s17, s20, s17
	v_writelane_b32 v120, s18, 6
	v_writelane_b32 v120, s17, 19
	v_readlane_b32 s17, v120, 5
	v_readlane_b32 s18, v120, 4
	s_delay_alu instid0(VALU_DEP_2) | instskip(NEXT) | instid1(VALU_DEP_1)
	s_and_not1_b32 s17, s17, exec_lo
	s_and_not1_b32 s18, s18, exec_lo
	s_or_b32 s16, s17, s16
	s_or_b32 s15, s18, s15
	v_writelane_b32 v120, s16, 5
	v_writelane_b32 v120, s15, 4
	s_delay_alu instid0(VALU_DEP_1) | instskip(SKIP_1) | instid1(VALU_DEP_2)
	v_readlane_b32 s15, v120, 3
	v_readlane_b32 s16, v120, 2
	s_and_not1_b32 s15, s15, exec_lo
	s_delay_alu instid0(VALU_DEP_1) | instskip(SKIP_4) | instid1(VALU_DEP_1)
	s_and_not1_b32 s16, s16, exec_lo
	s_or_b32 s14, s15, s14
	s_or_b32 s13, s16, s13
	v_writelane_b32 v120, s14, 3
	v_writelane_b32 v120, s13, 2
	v_readlane_b32 s13, v120, 1
	v_readlane_b32 s14, v120, 21
	s_delay_alu instid0(VALU_DEP_2) | instskip(NEXT) | instid1(VALU_DEP_1)
	s_and_not1_b32 s13, s13, exec_lo
	s_and_not1_b32 s14, s14, exec_lo
	s_or_b32 s12, s13, s12
	s_or_b32 s11, s14, s11
	v_writelane_b32 v120, s12, 1
	v_readlane_b32 s12, v121, 31
	v_writelane_b32 v120, s11, 21
	s_delay_alu instid0(VALU_DEP_2) | instskip(NEXT) | instid1(SALU_CYCLE_1)
	s_and_not1_b32 s12, s12, exec_lo
	s_or_b32 s9, s12, s9
	s_delay_alu instid0(SALU_CYCLE_1) | instskip(NEXT) | instid1(VALU_DEP_2)
	v_writelane_b32 v121, s9, 31
	v_readlane_b32 s11, v120, 0
	s_delay_alu instid0(VALU_DEP_2) | instskip(NEXT) | instid1(VALU_DEP_2)
	v_readlane_b32 s21, v121, 30
	s_and_not1_b32 s11, s11, exec_lo
	s_delay_alu instid0(SALU_CYCLE_1) | instskip(NEXT) | instid1(SALU_CYCLE_1)
	s_or_b32 s10, s11, s10
	v_writelane_b32 v120, s10, 0
	s_delay_alu instid0(VALU_DEP_1) | instskip(SKIP_1) | instid1(VALU_DEP_2)
	v_readlane_b32 s9, v120, 20
	v_readlane_b32 s10, v120, 22
	s_and_not1_b32 s9, s9, exec_lo
	s_delay_alu instid0(VALU_DEP_1)
	s_and_not1_b32 s10, s10, exec_lo
	s_or_b32 s8, s9, s8
	s_or_b32 s7, s10, s7
	v_writelane_b32 v120, s8, 20
	v_readlane_b32 s8, v111, 6
	v_writelane_b32 v120, s7, 22
	v_readlane_b32 s7, v111, 10
	s_delay_alu instid0(VALU_DEP_3) | instskip(NEXT) | instid1(SALU_CYCLE_1)
	s_and_not1_b32 s8, s8, exec_lo
	s_or_b32 s29, s8, s5
	v_readlane_b32 s5, v111, 5
	s_delay_alu instid0(VALU_DEP_2) | instskip(NEXT) | instid1(SALU_CYCLE_1)
	s_and_not1_b32 s7, s7, exec_lo
	s_or_b32 s22, s7, s6
	v_readlane_b32 s6, v111, 8
	s_delay_alu instid0(VALU_DEP_2) | instskip(NEXT) | instid1(SALU_CYCLE_1)
	;; [unrolled: 4-line block ×4, first 2 shown]
	s_and_not1_b32 s4, s4, exec_lo
	s_or_b32 s26, s4, s1
	s_delay_alu instid0(VALU_DEP_1) | instskip(NEXT) | instid1(SALU_CYCLE_1)
	s_and_not1_b32 s3, s3, exec_lo
	s_or_b32 s28, s3, s2
.LBB7_8:                                ;   in Loop: Header=BB7_15 Depth=1
	s_delay_alu instid0(VALU_DEP_1) | instskip(NEXT) | instid1(VALU_DEP_1)
	v_readlane_b32 s1, v120, 23
	s_or_b32 exec_lo, exec_lo, s1
	v_readlane_b32 s1, v120, 16
	v_readlane_b32 s2, v120, 0
	;; [unrolled: 1-line block ×3, first 2 shown]
	s_and_not1_b32 s3, s21, exec_lo
	s_and_b32 s22, s22, exec_lo
	s_and_b32 s25, s1, exec_lo
	v_readlane_b32 s1, v120, 15
	s_and_b32 s2, s2, exec_lo
	s_and_b32 s4, s4, exec_lo
	;; [unrolled: 1-line block ×3, first 2 shown]
	s_or_b32 s33, s3, s4
	s_and_b32 s24, s1, exec_lo
	v_readlane_b32 s1, v120, 14
	v_readlane_b32 s4, v120, 22
	s_or_not1_b32 s0, s0, exec_lo
	s_delay_alu instid0(VALU_DEP_2) | instskip(SKIP_1) | instid1(VALU_DEP_2)
	s_and_b32 s23, s1, exec_lo
	v_readlane_b32 s1, v120, 13
	s_and_b32 s4, s4, exec_lo
	s_delay_alu instid0(VALU_DEP_1) | instskip(SKIP_1) | instid1(VALU_DEP_1)
	s_and_b32 s20, s1, exec_lo
	v_readlane_b32 s1, v120, 12
	s_and_b32 s19, s1, exec_lo
	v_readlane_b32 s1, v120, 11
	s_delay_alu instid0(VALU_DEP_1) | instskip(SKIP_1) | instid1(VALU_DEP_1)
	s_and_b32 s18, s1, exec_lo
	v_readlane_b32 s1, v120, 18
	s_and_b32 s17, s1, exec_lo
	v_readlane_b32 s1, v120, 10
	s_delay_alu instid0(VALU_DEP_1) | instskip(SKIP_1) | instid1(VALU_DEP_1)
	s_and_b32 s16, s1, exec_lo
	v_readlane_b32 s1, v120, 9
	s_and_b32 s15, s1, exec_lo
	v_readlane_b32 s1, v120, 8
	s_delay_alu instid0(VALU_DEP_1) | instskip(SKIP_1) | instid1(VALU_DEP_1)
	s_and_b32 s14, s1, exec_lo
	v_readlane_b32 s1, v120, 7
	s_and_b32 s13, s1, exec_lo
	v_readlane_b32 s1, v120, 6
	s_delay_alu instid0(VALU_DEP_1) | instskip(SKIP_1) | instid1(VALU_DEP_1)
	s_and_b32 s12, s1, exec_lo
	v_readlane_b32 s1, v120, 19
	s_and_b32 s11, s1, exec_lo
	v_readlane_b32 s1, v120, 5
	s_delay_alu instid0(VALU_DEP_1) | instskip(SKIP_1) | instid1(VALU_DEP_1)
	s_and_b32 s10, s1, exec_lo
	v_readlane_b32 s1, v120, 4
	s_and_b32 s9, s1, exec_lo
	v_readlane_b32 s1, v120, 3
	s_delay_alu instid0(VALU_DEP_1) | instskip(SKIP_1) | instid1(VALU_DEP_1)
	s_and_b32 s8, s1, exec_lo
	v_readlane_b32 s1, v120, 2
	s_and_b32 s7, s1, exec_lo
	v_readlane_b32 s1, v120, 1
	s_delay_alu instid0(VALU_DEP_1) | instskip(SKIP_1) | instid1(VALU_DEP_1)
	s_and_b32 s6, s1, exec_lo
	v_readlane_b32 s1, v120, 21
	s_and_b32 s5, s1, exec_lo
	v_readlane_b32 s1, v121, 28
	s_delay_alu instid0(VALU_DEP_1) | instskip(NEXT) | instid1(SALU_CYCLE_1)
	s_and_not1_b32 s1, s1, exec_lo
	s_or_b32 s1, s1, s2
	v_readlane_b32 s2, v120, 20
	v_writelane_b32 v121, s1, 28
	s_delay_alu instid0(VALU_DEP_2) | instskip(NEXT) | instid1(VALU_DEP_1)
	s_and_b32 s2, s2, exec_lo
	v_readlane_b32 s1, v121, 27
	v_readlane_b32 s3, v121, 26
	s_delay_alu instid0(VALU_DEP_2) | instskip(NEXT) | instid1(VALU_DEP_1)
	s_and_not1_b32 s1, s1, exec_lo
	s_and_not1_b32 s3, s3, exec_lo
	s_or_b32 s1, s1, s2
	s_and_b32 s2, s28, exec_lo
	v_writelane_b32 v121, s1, 27
	s_or_b32 s1, s3, s4
	s_and_b32 s4, s30, exec_lo
	s_and_b32 s3, s27, exec_lo
	v_writelane_b32 v121, s1, 26
	s_and_b32 s1, s26, exec_lo
.LBB7_9:                                ;   in Loop: Header=BB7_15 Depth=1
	s_delay_alu instid0(VALU_DEP_1) | instskip(NEXT) | instid1(VALU_DEP_1)
	v_readlane_b32 s26, v121, 29
	s_or_b32 exec_lo, exec_lo, s26
	s_delay_alu instid0(SALU_CYCLE_1)
	s_and_b32 s31, s25, exec_lo
	s_and_b32 s25, s17, exec_lo
	s_and_b32 s17, s11, exec_lo
	s_and_b32 s11, s5, exec_lo
	v_readlane_b32 s5, v121, 28
	s_and_b32 s30, s24, exec_lo
	s_and_b32 s24, s16, exec_lo
	s_and_b32 s16, s10, exec_lo
	s_and_b32 s28, s20, exec_lo
	s_and_b32 s10, s5, exec_lo
	v_readlane_b32 s5, v121, 27
	s_and_b32 s20, s14, exec_lo
	;; [unrolled: 6-line block ×3, first 2 shown]
	s_and_b32 s23, s15, exec_lo
	s_and_b32 s19, s13, exec_lo
	;; [unrolled: 1-line block ×7, first 2 shown]
	s_or_not1_b32 s7, s5, exec_lo
	s_and_b32 s6, s22, exec_lo
	s_and_b32 s5, s21, exec_lo
	;; [unrolled: 1-line block ×6, first 2 shown]
	s_or_not1_b32 s0, s0, exec_lo
.LBB7_10:                               ;   in Loop: Header=BB7_15 Depth=1
	s_delay_alu instid0(VALU_DEP_1) | instskip(NEXT) | instid1(VALU_DEP_1)
	v_readlane_b32 s21, v121, 25
	s_or_b32 exec_lo, exec_lo, s21
	v_readlane_b32 s21, v122, 27
	s_and_b32 s22, s31, exec_lo
	s_and_b32 s29, s29, exec_lo
	s_and_b32 s27, s27, exec_lo
	s_and_b32 s25, s25, exec_lo
	s_and_not1_b32 s21, s21, exec_lo
	s_and_b32 s23, s23, exec_lo
	s_or_b32 s21, s21, s22
	s_and_b32 s22, s30, exec_lo
	v_writelane_b32 v122, s21, 27
	v_readlane_b32 s30, v121, 1
	s_and_b32 s19, s19, exec_lo
	s_and_b32 s20, s20, exec_lo
	;; [unrolled: 1-line block ×3, first 2 shown]
	v_readlane_b32 s21, v122, 31
	s_and_not1_b32 s30, s30, exec_lo
	s_and_b32 s17, s17, exec_lo
	s_and_b32 s15, s15, exec_lo
	;; [unrolled: 1-line block ×3, first 2 shown]
	s_and_not1_b32 s21, s21, exec_lo
	s_and_b32 s13, s13, exec_lo
	s_or_b32 s21, s21, s22
	s_and_b32 s22, s28, exec_lo
	v_writelane_b32 v122, s21, 31
	s_or_b32 s21, s30, s29
	s_and_b32 s14, s14, exec_lo
	v_writelane_b32 v121, s21, 1
	s_and_b32 s11, s11, exec_lo
	s_and_b32 s12, s12, exec_lo
	;; [unrolled: 1-line block ×4, first 2 shown]
	v_readlane_b32 s21, v121, 0
	v_readlane_b32 s28, v121, 2
	s_and_b32 s8, s8, exec_lo
	s_and_b32 s7, s7, exec_lo
	;; [unrolled: 1-line block ×3, first 2 shown]
	s_and_not1_b32 s21, s21, exec_lo
	s_and_not1_b32 s28, s28, exec_lo
	s_or_b32 s21, s21, s22
	s_and_b32 s22, s26, exec_lo
	v_writelane_b32 v121, s21, 0
	s_or_b32 s21, s28, s27
	s_and_b32 s6, s6, exec_lo
	s_and_b32 s4, s4, exec_lo
	s_and_b32 s3, s3, exec_lo
	v_writelane_b32 v121, s21, 2
	v_readlane_b32 s21, v122, 28
	s_and_b32 s2, s2, exec_lo
	s_and_b32 s1, s1, exec_lo
	s_delay_alu instid0(VALU_DEP_2) | instskip(NEXT) | instid1(VALU_DEP_2)
	v_readlane_b32 s26, v121, 3
	s_and_not1_b32 s21, s21, exec_lo
	s_delay_alu instid0(SALU_CYCLE_1) | instskip(SKIP_1) | instid1(VALU_DEP_1)
	s_or_b32 s21, s21, s22
	s_and_b32 s22, s24, exec_lo
	s_and_not1_b32 s26, s26, exec_lo
	v_writelane_b32 v122, s21, 28
	s_or_b32 s21, s26, s25
	s_delay_alu instid0(SALU_CYCLE_1) | instskip(NEXT) | instid1(VALU_DEP_2)
	v_writelane_b32 v121, s21, 3
	v_readlane_b32 s21, v122, 29
	s_delay_alu instid0(VALU_DEP_2) | instskip(NEXT) | instid1(VALU_DEP_2)
	v_readlane_b32 s24, v121, 5
	s_and_not1_b32 s21, s21, exec_lo
	s_delay_alu instid0(SALU_CYCLE_1) | instskip(NEXT) | instid1(VALU_DEP_1)
	s_or_b32 s21, s21, s22
	s_and_not1_b32 s24, s24, exec_lo
	v_writelane_b32 v122, s21, 29
	s_or_b32 s21, s24, s23
	s_delay_alu instid0(SALU_CYCLE_1) | instskip(NEXT) | instid1(VALU_DEP_2)
	v_writelane_b32 v121, s21, 5
	v_readlane_b32 s21, v122, 30
	s_delay_alu instid0(VALU_DEP_2) | instskip(NEXT) | instid1(VALU_DEP_2)
	v_readlane_b32 s22, v121, 6
	s_and_not1_b32 s21, s21, exec_lo
	s_delay_alu instid0(SALU_CYCLE_1) | instskip(NEXT) | instid1(VALU_DEP_1)
	s_or_b32 s20, s21, s20
	s_and_not1_b32 s22, s22, exec_lo
	v_writelane_b32 v122, s20, 30
	s_or_b32 s19, s22, s19
	s_delay_alu instid0(SALU_CYCLE_1) | instskip(NEXT) | instid1(VALU_DEP_1)
	v_writelane_b32 v121, s19, 6
	v_readlane_b32 s19, v121, 4
	v_readlane_b32 s20, v121, 7
	s_delay_alu instid0(VALU_DEP_2) | instskip(NEXT) | instid1(VALU_DEP_1)
	s_and_not1_b32 s19, s19, exec_lo
	s_and_not1_b32 s20, s20, exec_lo
	s_or_b32 s18, s19, s18
	s_or_b32 s17, s20, s17
	v_writelane_b32 v121, s18, 4
	v_writelane_b32 v121, s17, 7
	s_delay_alu instid0(VALU_DEP_1) | instskip(SKIP_1) | instid1(VALU_DEP_2)
	v_readlane_b32 s18, v121, 8
	v_readlane_b32 s17, v121, 15
	s_and_not1_b32 s18, s18, exec_lo
	s_delay_alu instid0(VALU_DEP_1) | instskip(SKIP_3) | instid1(VALU_DEP_1)
	s_and_not1_b32 s17, s17, exec_lo
	s_or_b32 s15, s18, s15
	s_or_b32 s21, s17, s16
	v_writelane_b32 v121, s15, 8
	v_readlane_b32 s16, v121, 9
	v_readlane_b32 s15, v121, 16
	s_delay_alu instid0(VALU_DEP_2) | instskip(NEXT) | instid1(VALU_DEP_1)
	s_and_not1_b32 s16, s16, exec_lo
	s_and_not1_b32 s15, s15, exec_lo
	s_or_b32 s13, s16, s13
	s_or_b32 s19, s15, s14
	v_writelane_b32 v121, s13, 9
	s_delay_alu instid0(VALU_DEP_1) | instskip(SKIP_1) | instid1(VALU_DEP_2)
	v_readlane_b32 s14, v121, 10
	v_readlane_b32 s13, v121, 17
	s_and_not1_b32 s14, s14, exec_lo
	s_delay_alu instid0(VALU_DEP_1) | instskip(SKIP_3) | instid1(VALU_DEP_1)
	s_and_not1_b32 s13, s13, exec_lo
	s_or_b32 s11, s14, s11
	s_or_b32 s17, s13, s12
	v_writelane_b32 v121, s11, 10
	v_readlane_b32 s12, v121, 11
	v_readlane_b32 s11, v121, 18
	s_delay_alu instid0(VALU_DEP_2) | instskip(NEXT) | instid1(VALU_DEP_1)
	s_and_not1_b32 s12, s12, exec_lo
	s_and_not1_b32 s11, s11, exec_lo
	s_or_b32 s9, s12, s9
	s_or_b32 s15, s11, s10
	v_writelane_b32 v121, s9, 11
	s_delay_alu instid0(VALU_DEP_1) | instskip(SKIP_1) | instid1(VALU_DEP_2)
	v_readlane_b32 s9, v121, 19
	v_readlane_b32 s10, v121, 22
	s_and_not1_b32 s9, s9, exec_lo
	s_delay_alu instid0(VALU_DEP_1) | instskip(SKIP_4) | instid1(VALU_DEP_2)
	s_and_not1_b32 s10, s10, exec_lo
	s_or_b32 s13, s9, s8
	v_readlane_b32 s8, v121, 13
	s_or_b32 s9, s10, s7
	v_readlane_b32 s7, v121, 20
	s_and_not1_b32 s8, s8, exec_lo
	s_delay_alu instid0(SALU_CYCLE_1) | instskip(NEXT) | instid1(VALU_DEP_1)
	s_or_b32 s5, s8, s5
	s_and_not1_b32 s7, s7, exec_lo
	v_writelane_b32 v121, s5, 13
	s_or_b32 s11, s7, s6
	s_delay_alu instid0(VALU_DEP_1) | instskip(SKIP_1) | instid1(VALU_DEP_2)
	v_readlane_b32 s5, v121, 21
	v_readlane_b32 s6, v121, 23
	s_and_not1_b32 s5, s5, exec_lo
	s_delay_alu instid0(VALU_DEP_1) | instskip(SKIP_4) | instid1(VALU_DEP_2)
	s_and_not1_b32 s6, s6, exec_lo
	s_or_b32 s8, s5, s4
	s_or_b32 s5, s6, s3
	v_readlane_b32 s3, v121, 12
	v_readlane_b32 s4, v121, 24
	s_and_not1_b32 s3, s3, exec_lo
	s_delay_alu instid0(VALU_DEP_1)
	s_and_not1_b32 s4, s4, exec_lo
	s_or_b32 s2, s3, s2
	s_or_b32 s30, s4, s1
	s_or_not1_b32 s1, s0, exec_lo
	v_writelane_b32 v121, s2, 12
.LBB7_11:                               ;   in Loop: Header=BB7_15 Depth=1
	s_delay_alu instid0(VALU_DEP_1) | instskip(NEXT) | instid1(VALU_DEP_1)
	v_readlane_b32 s0, v121, 14
	s_or_b32 exec_lo, exec_lo, s0
	v_readlane_b32 s3, v121, 1
	s_and_not1_b32 s0, s90, exec_lo
	v_readlane_b32 s2, v122, 27
	s_mov_b32 s12, s21
	s_mov_b32 s7, s11
	s_and_b32 s3, s3, exec_lo
	s_mov_b32 s11, s19
	s_or_b32 s26, s0, s3
	v_readlane_b32 s3, v121, 2
	s_and_b32 s2, s2, exec_lo
	s_mov_b32 s10, s17
	s_or_b32 s28, s0, s2
	v_readlane_b32 s2, v122, 31
	;; [unrolled: 4-line block ×5, first 2 shown]
	s_and_b32 s2, s2, exec_lo
	s_and_b32 s5, s5, exec_lo
	s_or_b32 s27, s0, s2
	v_readlane_b32 s2, v122, 28
	s_and_b32 s3, s3, exec_lo
	s_and_b32 s30, s30, exec_lo
	s_or_b32 s20, s0, s3
	v_readlane_b32 s3, v121, 6
	s_and_b32 s2, s2, exec_lo
	s_or_b32 s90, s0, s30
	s_or_b32 s25, s0, s2
	v_readlane_b32 s2, v122, 29
	s_and_b32 s3, s3, exec_lo
	s_delay_alu instid0(SALU_CYCLE_1) | instskip(SKIP_1) | instid1(VALU_DEP_2)
	s_or_b32 s18, s0, s3
	v_readlane_b32 s3, v121, 7
	s_and_b32 s2, s2, exec_lo
	s_delay_alu instid0(SALU_CYCLE_1) | instskip(SKIP_1) | instid1(VALU_DEP_2)
	;; [unrolled: 4-line block ×5, first 2 shown]
	s_or_b32 s14, s0, s3
	v_readlane_b32 s3, v121, 9
	s_and_b32 s2, s2, exec_lo
	s_delay_alu instid0(SALU_CYCLE_1) | instskip(SKIP_1) | instid1(VALU_DEP_1)
	s_or_b32 s19, s0, s2
	s_and_b32 s2, s12, exec_lo
	s_and_b32 s3, s3, exec_lo
	s_or_b32 s17, s0, s2
	s_or_b32 s12, s0, s3
	v_readlane_b32 s3, v121, 10
	s_and_b32 s2, s11, exec_lo
	s_delay_alu instid0(SALU_CYCLE_1) | instskip(SKIP_1) | instid1(VALU_DEP_1)
	s_or_b32 s15, s0, s2
	s_and_b32 s2, s10, exec_lo
	s_and_b32 s3, s3, exec_lo
	s_or_b32 s13, s0, s2
	s_or_b32 s10, s0, s3
	v_readlane_b32 s3, v121, 11
	s_and_b32 s2, s8, exec_lo
	s_delay_alu instid0(SALU_CYCLE_1) | instskip(SKIP_1) | instid1(VALU_DEP_1)
	s_or_b32 s11, s0, s2
	s_and_b32 s2, s6, exec_lo
	s_and_b32 s3, s3, exec_lo
	s_delay_alu instid0(SALU_CYCLE_1)
	s_or_b32 s8, s0, s3
	s_and_b32 s3, s9, exec_lo
	s_or_b32 s9, s0, s2
	s_and_b32 s2, s7, exec_lo
	s_or_b32 s6, s0, s3
	s_or_b32 s7, s0, s2
	s_and_b32 s2, s4, exec_lo
	v_readlane_b32 s3, v121, 13
	s_or_b32 s4, s0, s2
	s_or_b32 s2, s0, s5
	v_readlane_b32 s5, v121, 12
	s_delay_alu instid0(VALU_DEP_2) | instskip(NEXT) | instid1(SALU_CYCLE_1)
	s_and_b32 s3, s3, exec_lo
	s_or_b32 s3, s0, s3
	s_delay_alu instid0(VALU_DEP_1) | instskip(NEXT) | instid1(SALU_CYCLE_1)
	s_and_b32 s5, s5, exec_lo
	s_or_b32 s5, s0, s5
	s_or_not1_b32 s0, s1, exec_lo
.LBB7_12:                               ;   in Loop: Header=BB7_15 Depth=1
	s_delay_alu instid0(VALU_DEP_1) | instskip(NEXT) | instid1(VALU_DEP_1)
	v_readlane_b32 s1, v122, 26
	s_or_b32 exec_lo, exec_lo, s1
	s_delay_alu instid0(SALU_CYCLE_1)
	s_and_b32 s30, s28, exec_lo
	s_and_b32 s29, s29, exec_lo
	;; [unrolled: 1-line block ×27, first 2 shown]
	s_or_not1_b32 s2, s5, exec_lo
	s_and_b32 s1, s90, exec_lo
	s_or_not1_b32 s0, s0, exec_lo
.LBB7_13:                               ;   in Loop: Header=BB7_15 Depth=1
	s_delay_alu instid0(VALU_DEP_1) | instskip(NEXT) | instid1(VALU_DEP_1)
	v_readlane_b32 s5, v122, 10
	s_or_b32 exec_lo, exec_lo, s5
	s_delay_alu instid0(SALU_CYCLE_1)
	s_and_not1_b32 s5, s89, exec_lo
	s_and_b32 s30, s30, exec_lo
	s_and_b32 s29, s29, exec_lo
	s_or_b32 s89, s5, s30
	v_readlane_b32 s30, v122, 9
	s_and_b32 s28, s28, exec_lo
	s_and_b32 s27, s27, exec_lo
	;; [unrolled: 1-line block ×26, first 2 shown]
	s_or_not1_b32 s1, s1, exec_lo
	s_or_not1_b32 s0, s0, exec_lo
.LBB7_14:                               ;   in Loop: Header=BB7_15 Depth=1
	s_or_b32 exec_lo, exec_lo, s30
	s_xor_b32 s6, s29, -1
	s_xor_b32 s28, s28, -1
	;; [unrolled: 1-line block ×28, first 2 shown]
	s_and_b32 s0, exec_lo, s0
	s_delay_alu instid0(SALU_CYCLE_1)
	s_or_b32 s84, s0, s84
	s_and_not1_b32 s0, s88, exec_lo
	s_and_b32 s29, s89, exec_lo
	s_and_b32 s6, s6, exec_lo
	s_or_b32 s88, s0, s29
	v_readlane_b32 s0, v122, 11
	v_readlane_b32 s29, v122, 12
	s_and_b32 s28, s28, exec_lo
	s_and_b32 s26, s26, exec_lo
	;; [unrolled: 1-line block ×3, first 2 shown]
	s_and_not1_b32 s0, s0, exec_lo
	s_and_not1_b32 s29, s29, exec_lo
	s_or_b32 s0, s0, s6
	s_and_b32 s6, s27, exec_lo
	v_writelane_b32 v122, s0, 11
	s_or_b32 s0, s29, s28
	s_and_b32 s22, s22, exec_lo
	s_and_b32 s20, s20, exec_lo
	;; [unrolled: 1-line block ×3, first 2 shown]
	v_writelane_b32 v122, s0, 12
	s_and_b32 s16, s16, exec_lo
	s_and_b32 s5, s5, exec_lo
	s_and_b32 s4, s4, exec_lo
	s_and_b32 s3, s3, exec_lo
	v_readlane_b32 s0, v122, 13
	v_readlane_b32 s27, v122, 14
	s_and_b32 s14, s14, exec_lo
	s_and_b32 s12, s12, exec_lo
	;; [unrolled: 1-line block ×3, first 2 shown]
	s_and_not1_b32 s0, s0, exec_lo
	s_and_not1_b32 s27, s27, exec_lo
	s_or_b32 s0, s0, s6
	s_and_b32 s6, s25, exec_lo
	v_writelane_b32 v122, s0, 13
	s_or_b32 s0, s27, s26
	s_and_b32 s8, s8, exec_lo
	s_and_b32 s2, s2, exec_lo
	;; [unrolled: 1-line block ×3, first 2 shown]
	v_writelane_b32 v122, s0, 14
	s_delay_alu instid0(VALU_DEP_1) | instskip(SKIP_1) | instid1(VALU_DEP_2)
	v_readlane_b32 s0, v122, 15
	v_readlane_b32 s25, v122, 16
	s_and_not1_b32 s0, s0, exec_lo
	s_delay_alu instid0(VALU_DEP_1) | instskip(SKIP_4) | instid1(SALU_CYCLE_1)
	s_and_not1_b32 s25, s25, exec_lo
	s_or_b32 s0, s0, s6
	s_and_b32 s6, s23, exec_lo
	v_writelane_b32 v122, s0, 15
	s_or_b32 s0, s25, s24
	v_writelane_b32 v122, s0, 16
	s_delay_alu instid0(VALU_DEP_1) | instskip(SKIP_1) | instid1(VALU_DEP_2)
	v_readlane_b32 s0, v122, 17
	v_readlane_b32 s23, v122, 18
	s_and_not1_b32 s0, s0, exec_lo
	s_delay_alu instid0(VALU_DEP_1) | instskip(SKIP_4) | instid1(SALU_CYCLE_1)
	s_and_not1_b32 s23, s23, exec_lo
	s_or_b32 s0, s0, s6
	s_and_b32 s6, s21, exec_lo
	v_writelane_b32 v122, s0, 17
	s_or_b32 s0, s23, s22
	;; [unrolled: 11-line block ×4, first 2 shown]
	v_writelane_b32 v122, s0, 22
	s_delay_alu instid0(VALU_DEP_1) | instskip(SKIP_1) | instid1(VALU_DEP_2)
	v_readlane_b32 s0, v122, 23
	v_readlane_b32 s17, v122, 24
	s_and_not1_b32 s0, s0, exec_lo
	s_delay_alu instid0(VALU_DEP_1)
	s_and_not1_b32 s17, s17, exec_lo
	s_or_b32 s0, s0, s6
	s_and_b32 s6, s15, exec_lo
	v_writelane_b32 v122, s0, 23
	s_or_b32 s0, s17, s16
	s_and_not1_b32 s15, s75, exec_lo
	s_delay_alu instid0(SALU_CYCLE_1) | instskip(SKIP_1) | instid1(VALU_DEP_1)
	s_or_b32 s75, s15, s14
	v_writelane_b32 v122, s0, 24
	v_readlane_b32 s0, v122, 25
	s_delay_alu instid0(VALU_DEP_1) | instskip(NEXT) | instid1(SALU_CYCLE_1)
	s_and_not1_b32 s0, s0, exec_lo
	s_or_b32 s0, s0, s6
	s_and_b32 s6, s13, exec_lo
	v_writelane_b32 v122, s0, 25
	s_and_not1_b32 s0, s76, exec_lo
	s_and_not1_b32 s13, s77, exec_lo
	s_or_b32 s76, s0, s6
	s_and_not1_b32 s0, s78, exec_lo
	s_and_b32 s6, s11, exec_lo
	s_and_not1_b32 s11, s79, exec_lo
	s_or_b32 s78, s0, s6
	s_and_not1_b32 s0, s98, exec_lo
	s_and_b32 s6, s9, exec_lo
	;; [unrolled: 4-line block ×3, first 2 shown]
	s_and_not1_b32 s7, s82, exec_lo
	s_or_b32 s81, s0, s6
	s_or_b32 s82, s7, s5
	s_and_not1_b32 s0, s83, exec_lo
	s_and_not1_b32 s5, s62, exec_lo
	s_or_b32 s83, s0, s4
	s_or_b32 s62, s5, s3
	s_and_not1_b32 s0, s63, exec_lo
	s_and_not1_b32 s3, s86, exec_lo
	s_or_b32 s77, s13, s12
	s_or_b32 s79, s11, s10
	;; [unrolled: 1-line block ×5, first 2 shown]
	s_and_not1_b32 exec_lo, exec_lo, s84
	s_cbranch_execz .LBB7_267
.LBB7_15:                               ; =>This Loop Header: Depth=1
                                        ;     Child Loop BB7_21 Depth 2
                                        ;     Child Loop BB7_39 Depth 2
	;; [unrolled: 1-line block ×6, first 2 shown]
                                        ;       Child Loop BB7_103 Depth 3
                                        ;     Child Loop BB7_124 Depth 2
                                        ;     Child Loop BB7_128 Depth 2
	;; [unrolled: 1-line block ×7, first 2 shown]
                                        ;       Child Loop BB7_211 Depth 3
                                        ;     Child Loop BB7_250 Depth 2
	v_ashrrev_i32_e32 v89, 31, v88
	v_readlane_b32 s0, v123, 5
	v_readlane_b32 s1, v123, 6
	;; [unrolled: 1-line block ×4, first 2 shown]
	v_lshlrev_b64 v[92:93], 2, v[88:89]
	v_readlane_b32 s6, v123, 11
	v_readlane_b32 s7, v123, 12
	;; [unrolled: 1-line block ×4, first 2 shown]
	v_add_co_u32 v0, vcc_lo, s0, v92
	v_add_co_ci_u32_e32 v1, vcc_lo, s1, v93, vcc_lo
	s_mov_b32 s0, exec_lo
	global_load_b32 v94, v[0:1], off
	s_waitcnt vmcnt(0)
	v_ashrrev_i32_e32 v95, 31, v94
	s_delay_alu instid0(VALU_DEP_1) | instskip(NEXT) | instid1(VALU_DEP_1)
	v_lshlrev_b64 v[0:1], 2, v[94:95]
	v_add_co_u32 v2, vcc_lo, s4, v0
	s_delay_alu instid0(VALU_DEP_2)
	v_add_co_ci_u32_e32 v3, vcc_lo, s5, v1, vcc_lo
	v_add_co_u32 v0, vcc_lo, s6, v0
	v_add_co_ci_u32_e32 v1, vcc_lo, s7, v1, vcc_lo
	global_load_b32 v58, v[2:3], off
	global_load_b32 v77, v[0:1], off
	v_mov_b32_e32 v0, 0
	v_cmpx_ne_u32_e32 0, v88
	s_cbranch_execz .LBB7_17
; %bb.16:                               ;   in Loop: Header=BB7_15 Depth=1
	v_readlane_b32 s1, v122, 5
	s_delay_alu instid0(VALU_DEP_1) | instskip(SKIP_1) | instid1(VALU_DEP_1)
	v_add_co_u32 v0, vcc_lo, s1, v92
	v_readlane_b32 s1, v122, 8
	v_add_co_ci_u32_e32 v1, vcc_lo, s1, v93, vcc_lo
	global_load_b32 v0, v[0:1], off
.LBB7_17:                               ;   in Loop: Header=BB7_15 Depth=1
	s_or_b32 exec_lo, exec_lo, s0
	v_readlane_b32 s0, v122, 6
	v_readlane_b32 s1, v122, 7
	s_mov_b32 s2, 0
	s_and_not1_b32 s89, s89, exec_lo
	s_mov_b32 s3, 0
	v_add_co_u32 v1, vcc_lo, s0, v92
	v_add_co_ci_u32_e32 v2, vcc_lo, s1, v93, vcc_lo
	s_waitcnt vmcnt(1)
	v_cmp_lt_i32_e32 vcc_lo, 5, v58
	s_mov_b32 s0, -1
	s_mov_b32 s1, -1
	global_load_b32 v1, v[1:2], off
	v_add_nc_u32_e32 v2, -5, v58
	s_mov_b32 s4, 0
	s_mov_b32 s5, 0
	;; [unrolled: 1-line block ×4, first 2 shown]
	v_lshlrev_b32_e64 v2, v2, 1
	s_mov_b32 s9, 0
	s_mov_b32 s10, 0
	;; [unrolled: 1-line block ×4, first 2 shown]
	v_cndmask_b32_e32 v106, 1, v2, vcc_lo
	s_mov_b32 s13, 0
	s_mov_b32 s14, 0
	;; [unrolled: 1-line block ×17, first 2 shown]
	s_mov_b32 s30, exec_lo
	s_waitcnt vmcnt(0)
	v_sub_nc_u32_e32 v1, v1, v0
	s_delay_alu instid0(VALU_DEP_1)
	v_cmpx_eq_u32_e64 v1, v106
	s_cbranch_execz .LBB7_14
; %bb.18:                               ;   in Loop: Header=BB7_15 Depth=1
	s_movk_i32 s0, 0x1010
	v_writelane_b32 v122, s30, 9
	scratch_load_b32 v1, off, s0
	s_mov_b32 s0, -1
	s_mov_b32 s1, 0
	s_mov_b32 s2, -1
	s_mov_b32 s6, 0
	s_mov_b32 s30, 0
	s_waitcnt vmcnt(0)
	v_cmp_lt_i32_e32 vcc_lo, -1, v1
	s_mov_b32 s5, exec_lo
	s_delay_alu instid0(SALU_CYCLE_1) | instskip(SKIP_1) | instid1(SALU_CYCLE_1)
	v_writelane_b32 v122, s5, 10
	s_and_b32 s5, s5, vcc_lo
	s_mov_b32 exec_lo, s5
	s_cbranch_execz .LBB7_13
; %bb.19:                               ;   in Loop: Header=BB7_15 Depth=1
	s_movk_i32 s0, 0x1010
	v_ashrrev_i32_e32 v1, 31, v0
	scratch_store_b32 off, v72, s0
	v_readlane_b32 s0, v123, 0
	v_readlane_b32 s1, v123, 1
	v_dual_mov_b32 v4, v58 :: v_dual_mov_b32 v5, v47
	v_lshlrev_b64 v[107:108], 2, v[0:1]
	s_delay_alu instid0(VALU_DEP_4) | instskip(NEXT) | instid1(VALU_DEP_3)
	s_add_u32 s8, s0, 0x80
	s_addc_u32 s9, s1, 0
	v_readlane_b32 s0, v123, 25
	v_readlane_b32 s2, v123, 27
	v_readlane_b32 s3, v123, 28
	v_readlane_b32 s1, v123, 26
	s_getpc_b64 s[0:1]
	s_add_u32 s0, s0, _ZN3sop13minatoIsopRecEPKjS1_iPNS_3SopEP7VecsMemIjLi8192EE@rel32@lo+4
	s_addc_u32 s1, s1, _ZN3sop13minatoIsopRecEPKjS1_iPNS_3SopEP7VecsMemIjLi8192EE@rel32@hi+12
	v_add_co_u32 v59, vcc_lo, s2, v107
	s_movk_i32 s2, 0x1010
	v_add_co_ci_u32_e32 v60, vcc_lo, s3, v108, vcc_lo
	v_dual_mov_b32 v6, v40 :: v_dual_mov_b32 v7, s2
	v_readlane_b32 s2, v123, 31
	s_delay_alu instid0(VALU_DEP_3) | instskip(SKIP_1) | instid1(VALU_DEP_3)
	v_dual_mov_b32 v0, v59 :: v_dual_mov_b32 v1, v60
	v_dual_mov_b32 v2, v59 :: v_dual_mov_b32 v3, v60
	v_mov_b32_e32 v8, s2
	s_swappc_b64 s[30:31], s[0:1]
	v_mov_b32_e32 v2, v106
	s_mov_b32 s0, 0
                                        ; implicit-def: $sgpr90
                                        ; implicit-def: $sgpr1
                                        ; implicit-def: $sgpr3
                                        ; implicit-def: $sgpr2
	s_set_inst_prefetch_distance 0x1
	s_branch .LBB7_21
	.p2align	6
.LBB7_20:                               ;   in Loop: Header=BB7_21 Depth=2
	s_or_b32 exec_lo, exec_lo, s4
	s_delay_alu instid0(SALU_CYCLE_1) | instskip(NEXT) | instid1(SALU_CYCLE_1)
	s_and_b32 s4, exec_lo, s3
	s_or_b32 s0, s4, s0
	s_and_not1_b32 s1, s1, exec_lo
	s_and_b32 s4, s2, exec_lo
	s_and_not1_b32 s6, s90, exec_lo
	s_and_b32 s5, s5, exec_lo
	s_or_b32 s1, s1, s4
	s_or_b32 s90, s6, s5
	s_and_not1_b32 exec_lo, exec_lo, s0
	s_cbranch_execz .LBB7_23
.LBB7_21:                               ;   Parent Loop BB7_15 Depth=1
                                        ; =>  This Inner Loop Header: Depth=2
	s_or_b32 s2, s2, exec_lo
	s_or_b32 s3, s3, exec_lo
	s_mov_b32 s4, exec_lo
                                        ; implicit-def: $sgpr5
	v_cmpx_lt_i32_e32 0, v2
	s_cbranch_execz .LBB7_20
; %bb.22:                               ;   in Loop: Header=BB7_21 Depth=2
	v_dual_mov_b32 v3, v72 :: v_dual_add_nc_u32 v2, -1, v2
	s_and_not1_b32 s3, s3, exec_lo
	s_mov_b32 s5, 0
	s_and_not1_b32 s2, s2, exec_lo
	s_delay_alu instid0(VALU_DEP_1) | instskip(NEXT) | instid1(VALU_DEP_1)
	v_lshlrev_b64 v[3:4], 2, v[2:3]
	v_add_co_u32 v5, vcc_lo, v59, v3
	s_delay_alu instid0(VALU_DEP_2)
	v_add_co_ci_u32_e32 v6, vcc_lo, v60, v4, vcc_lo
	v_add_co_u32 v3, vcc_lo, v0, v3
	v_add_co_ci_u32_e32 v4, vcc_lo, v1, v4, vcc_lo
	global_load_b32 v5, v[5:6], off
	flat_load_b32 v3, v[3:4]
	s_waitcnt vmcnt(0) lgkmcnt(0)
	v_cmp_ne_u32_e32 vcc_lo, v5, v3
	s_and_b32 s6, vcc_lo, exec_lo
	s_delay_alu instid0(SALU_CYCLE_1)
	s_or_b32 s3, s3, s6
	s_branch .LBB7_20
.LBB7_23:                               ;   in Loop: Header=BB7_15 Depth=1
	s_set_inst_prefetch_distance 0x2
	s_or_b32 exec_lo, exec_lo, s0
	s_mov_b32 s0, -1
	s_mov_b32 s5, s90
	s_mov_b32 s2, s90
	;; [unrolled: 1-line block ×28, first 2 shown]
	s_and_saveexec_b32 s30, s1
	s_delay_alu instid0(SALU_CYCLE_1) | instskip(NEXT) | instid1(SALU_CYCLE_1)
	s_xor_b32 s30, exec_lo, s30
	v_writelane_b32 v122, s30, 26
	s_cbranch_execz .LBB7_12
; %bb.24:                               ;   in Loop: Header=BB7_15 Depth=1
	ds_load_b32 v7, v47 offset:4
	s_mov_b32 s3, 0
	s_mov_b32 s1, 0
	s_mov_b32 s0, exec_lo
	s_waitcnt lgkmcnt(0)
	v_cmpx_lt_i32_e32 0, v7
	s_xor_b32 s2, exec_lo, s0
	s_cbranch_execz .LBB7_28
; %bb.25:                               ;   in Loop: Header=BB7_15 Depth=1
	s_mov_b32 s0, -1
	s_mov_b32 s3, exec_lo
	v_cmpx_eq_u32_e32 1, v7
	s_cbranch_execz .LBB7_27
; %bb.26:                               ;   in Loop: Header=BB7_15 Depth=1
	ds_load_b64 v[0:1], v47 offset:8
	s_waitcnt lgkmcnt(0)
	flat_load_b32 v0, v[0:1]
	s_waitcnt vmcnt(0) lgkmcnt(0)
	v_cmp_eq_u32_e32 vcc_lo, 0, v0
	v_cmp_ne_u32_e64 s0, 0, v0
	s_and_b32 s1, vcc_lo, exec_lo
	s_delay_alu instid0(VALU_DEP_1)
	s_or_not1_b32 s0, s0, exec_lo
.LBB7_27:                               ;   in Loop: Header=BB7_15 Depth=1
	s_or_b32 exec_lo, exec_lo, s3
	s_delay_alu instid0(SALU_CYCLE_1)
	s_and_b32 s1, s1, exec_lo
	s_and_b32 s3, s0, exec_lo
.LBB7_28:                               ;   in Loop: Header=BB7_15 Depth=1
	s_and_not1_saveexec_b32 s0, s2
; %bb.29:                               ;   in Loop: Header=BB7_15 Depth=1
	v_cmp_ne_u32_e32 vcc_lo, 0, v7
	s_and_not1_b32 s2, s3, exec_lo
	s_or_b32 s1, s1, exec_lo
	s_and_b32 s3, vcc_lo, exec_lo
	s_delay_alu instid0(SALU_CYCLE_1)
	s_or_b32 s3, s2, s3
; %bb.30:                               ;   in Loop: Header=BB7_15 Depth=1
	s_or_b32 exec_lo, exec_lo, s0
	v_writelane_b32 v122, s90, 30
	s_mov_b32 s0, 0
	s_mov_b32 s30, s90
	s_mov_b32 s4, s90
	s_mov_b32 s5, s90
	v_writelane_b32 v122, s90, 29
	s_mov_b32 s8, s90
	s_mov_b32 s6, s90
	s_mov_b32 s11, s90
	s_mov_b32 s9, s90
	;; [unrolled: 5-line block ×3, first 2 shown]
	s_mov_b32 s17, s90
	s_mov_b32 s14, s90
	;; [unrolled: 1-line block ×14, first 2 shown]
	v_writelane_b32 v122, s90, 27
	s_and_saveexec_b32 s2, s3
	s_cbranch_execz .LBB7_45
; %bb.31:                               ;   in Loop: Header=BB7_15 Depth=1
	v_mov_b32_e32 v0, 0
	v_mov_b32_e32 v1, 0
	s_mov_b32 s8, -1
	s_mov_b32 s3, s90
	s_mov_b32 s4, s90
	s_mov_b32 s0, exec_lo
	v_cmpx_lt_i32_e32 0, v7
	s_cbranch_execz .LBB7_35
; %bb.32:                               ;   in Loop: Header=BB7_15 Depth=1
	s_movk_i32 s3, 0x1010
	v_mov_b32_e32 v0, 0
	scratch_load_b32 v3, off, s3
	s_mov_b32 s5, 0
	s_mov_b32 s3, exec_lo
	s_waitcnt vmcnt(0)
	v_dual_mov_b32 v1, 0 :: v_dual_add_nc_u32 v2, v3, v7
	s_delay_alu instid0(VALU_DEP_1)
	v_cmpx_gt_i32_e32 0x2001, v2
	s_cbranch_execz .LBB7_34
; %bb.33:                               ;   in Loop: Header=BB7_15 Depth=1
	v_readlane_b32 s4, v123, 29
	s_mov_b64 s[6:7], src_private_base
	s_mov_b32 s5, exec_lo
	v_mov_b32_e32 v1, s7
	s_delay_alu instid0(VALU_DEP_2)
	v_lshl_add_u32 v0, v3, 2, s4
	s_movk_i32 s4, 0x1010
	scratch_store_b32 off, v2, s4
.LBB7_34:                               ;   in Loop: Header=BB7_15 Depth=1
	s_or_b32 exec_lo, exec_lo, s3
	s_delay_alu instid0(SALU_CYCLE_1)
	s_or_b32 s4, s90, exec_lo
	s_and_not1_b32 s3, s90, exec_lo
	s_or_not1_b32 s8, s5, exec_lo
.LBB7_35:                               ;   in Loop: Header=BB7_15 Depth=1
	s_or_b32 exec_lo, exec_lo, s0
	s_mov_b32 s0, 0
	s_mov_b32 s5, s3
	;; [unrolled: 1-line block ×3, first 2 shown]
	s_and_saveexec_b32 s7, s8
	s_cbranch_execz .LBB7_44
; %bb.36:                               ;   in Loop: Header=BB7_15 Depth=1
	s_mov_b32 s6, -1
	s_mov_b32 s8, 0
	s_mov_b32 s5, exec_lo
	v_cmpx_ne_u64_e32 0, v[0:1]
	s_cbranch_execz .LBB7_43
; %bb.37:                               ;   in Loop: Header=BB7_15 Depth=1
	s_mov_b32 s6, exec_lo
	v_cmpx_lt_i32_e32 0, v7
	s_cbranch_execz .LBB7_42
; %bb.38:                               ;   in Loop: Header=BB7_15 Depth=1
	ds_load_b64 v[2:3], v47 offset:8
	v_dual_mov_b32 v5, v1 :: v_dual_mov_b32 v4, v0
	v_mov_b32_e32 v6, v7
.LBB7_39:                               ;   Parent Loop BB7_15 Depth=1
                                        ; =>  This Inner Loop Header: Depth=2
	s_waitcnt lgkmcnt(0)
	flat_load_b32 v8, v[2:3]
	v_add_nc_u32_e32 v6, -1, v6
	v_add_co_u32 v2, vcc_lo, v2, 4
	v_add_co_ci_u32_e32 v3, vcc_lo, 0, v3, vcc_lo
	s_delay_alu instid0(VALU_DEP_3) | instskip(SKIP_4) | instid1(VALU_DEP_1)
	v_cmp_eq_u32_e32 vcc_lo, 0, v6
	s_or_b32 s8, vcc_lo, s8
	s_waitcnt vmcnt(0) lgkmcnt(0)
	flat_store_b32 v[4:5], v8
	v_add_co_u32 v4, s0, v4, 4
	v_add_co_ci_u32_e64 v5, s0, 0, v5, s0
	s_and_not1_b32 exec_lo, exec_lo, s8
	s_cbranch_execnz .LBB7_39
; %bb.40:                               ;   in Loop: Header=BB7_15 Depth=1
	s_or_b32 exec_lo, exec_lo, s8
	v_mov_b32_e32 v2, v7
	v_readlane_b32 s9, v123, 29
	s_mov_b32 s8, 0
.LBB7_41:                               ;   Parent Loop BB7_15 Depth=1
                                        ; =>  This Inner Loop Header: Depth=2
	flat_load_b32 v3, v[0:1]
	v_add_nc_u32_e32 v2, -1, v2
	v_add_co_u32 v0, vcc_lo, v0, 4
	v_add_co_ci_u32_e32 v1, vcc_lo, 0, v1, vcc_lo
	s_delay_alu instid0(VALU_DEP_3) | instskip(SKIP_4) | instid1(SALU_CYCLE_1)
	v_cmp_eq_u32_e64 s0, 0, v2
	s_waitcnt vmcnt(0) lgkmcnt(0)
	scratch_store_b32 off, v3, s9
	s_add_i32 s9, s9, 4
	s_or_b32 s8, s0, s8
	s_and_not1_b32 exec_lo, exec_lo, s8
	s_cbranch_execnz .LBB7_41
.LBB7_42:                               ;   in Loop: Header=BB7_15 Depth=1
	s_or_b32 exec_lo, exec_lo, s6
	s_movk_i32 s0, 0x1010
	s_mov_b32 s8, exec_lo
	scratch_load_b32 v0, off, s0
	s_xor_b32 s6, exec_lo, -1
	s_waitcnt vmcnt(0)
	v_cmp_ge_i32_e32 vcc_lo, v0, v7
	s_and_b32 s0, vcc_lo, exec_lo
.LBB7_43:                               ;   in Loop: Header=BB7_15 Depth=1
	s_or_b32 exec_lo, exec_lo, s5
	s_delay_alu instid0(SALU_CYCLE_1)
	s_and_not1_b32 s3, s3, exec_lo
	s_and_b32 s5, s8, exec_lo
	s_and_b32 s8, s6, exec_lo
	s_or_b32 s6, s3, s5
	s_or_b32 s5, s3, s8
	s_and_not1_b32 s4, s4, exec_lo
	s_and_b32 s0, s0, exec_lo
.LBB7_44:                               ;   in Loop: Header=BB7_15 Depth=1
	s_or_b32 exec_lo, exec_lo, s7
	s_delay_alu instid0(SALU_CYCLE_1)
	s_and_not1_b32 s7, s90, exec_lo
	s_and_b32 s8, s3, exec_lo
	s_and_b32 s9, s3, exec_lo
	s_or_b32 s8, s7, s8
	s_or_b32 s26, s7, s9
	v_writelane_b32 v122, s8, 27
	s_and_b32 s8, s3, exec_lo
	s_and_b32 s9, s3, exec_lo
	s_or_b32 s28, s7, s8
	s_and_b32 s8, s3, exec_lo
	s_or_b32 s25, s7, s9
	s_or_b32 s27, s7, s8
	s_and_b32 s8, s3, exec_lo
	s_and_b32 s9, s3, exec_lo
	s_or_b32 s8, s7, s8
	s_or_b32 s24, s7, s9
	v_writelane_b32 v122, s8, 28
	s_and_b32 s8, s3, exec_lo
	s_and_b32 s9, s3, exec_lo
	s_or_b32 s8, s7, s8
	s_or_b32 s22, s7, s9
	v_writelane_b32 v122, s8, 29
	;; [unrolled: 5-line block ×3, first 2 shown]
	s_and_b32 s8, s3, exec_lo
	s_and_b32 s9, s3, exec_lo
	s_or_b32 s23, s7, s8
	s_and_b32 s8, s3, exec_lo
	s_or_b32 s18, s7, s9
	s_or_b32 s21, s7, s8
	s_and_b32 s8, s3, exec_lo
	s_and_b32 s9, s3, exec_lo
	s_or_b32 s19, s7, s8
	s_and_b32 s8, s3, exec_lo
	s_or_b32 s16, s7, s9
	;; [unrolled: 2-line block ×7, first 2 shown]
	s_and_b32 s8, s3, exec_lo
	s_and_b32 s5, s5, exec_lo
	;; [unrolled: 1-line block ×3, first 2 shown]
	s_or_b32 s10, s7, s9
	s_and_b32 s9, s3, exec_lo
	s_and_b32 s6, s6, exec_lo
	s_or_b32 s11, s7, s8
	s_or_b32 s8, s7, s5
	;; [unrolled: 1-line block ×3, first 2 shown]
	s_and_b32 s4, s3, exec_lo
	s_and_b32 s3, s3, exec_lo
	s_or_b32 s9, s7, s9
	s_or_b32 s6, s7, s6
	;; [unrolled: 1-line block ×4, first 2 shown]
	s_mov_b32 s7, s23
	s_and_b32 s0, s0, exec_lo
	s_and_not1_b32 s1, s1, exec_lo
.LBB7_45:                               ;   in Loop: Header=BB7_15 Depth=1
	s_or_b32 exec_lo, exec_lo, s2
	s_and_saveexec_b32 s2, s1
	s_cbranch_execz .LBB7_47
; %bb.46:                               ;   in Loop: Header=BB7_15 Depth=1
	s_movk_i32 s1, 0x1010
	s_and_not1_b32 s0, s0, exec_lo
	scratch_load_b32 v0, off, s1
	v_readlane_b32 s1, v122, 27
	s_and_not1_b32 s28, s28, exec_lo
	s_and_not1_b32 s26, s26, exec_lo
	;; [unrolled: 1-line block ×6, first 2 shown]
	v_writelane_b32 v122, s1, 27
	s_and_not1_b32 s22, s22, exec_lo
	s_and_not1_b32 s20, s20, exec_lo
	;; [unrolled: 1-line block ×4, first 2 shown]
	v_readlane_b32 s1, v122, 28
	s_and_not1_b32 s21, s21, exec_lo
	s_and_not1_b32 s16, s16, exec_lo
	;; [unrolled: 1-line block ×6, first 2 shown]
	v_writelane_b32 v122, s1, 28
	s_and_not1_b32 s12, s12, exec_lo
	s_and_not1_b32 s15, s15, exec_lo
	;; [unrolled: 1-line block ×4, first 2 shown]
	v_readlane_b32 s1, v122, 29
	s_and_not1_b32 s9, s9, exec_lo
	s_or_b32 s11, s11, exec_lo
	s_and_not1_b32 s6, s6, exec_lo
	s_and_not1_b32 s8, s8, exec_lo
	;; [unrolled: 1-line block ×4, first 2 shown]
	v_writelane_b32 v122, s1, 29
	s_and_not1_b32 s4, s4, exec_lo
	s_and_not1_b32 s30, s30, exec_lo
	s_delay_alu instid0(VALU_DEP_1) | instskip(NEXT) | instid1(VALU_DEP_1)
	v_readlane_b32 s1, v122, 30
	s_and_not1_b32 s1, s1, exec_lo
	s_delay_alu instid0(SALU_CYCLE_1) | instskip(SKIP_3) | instid1(SALU_CYCLE_1)
	v_writelane_b32 v122, s1, 30
	s_waitcnt vmcnt(0)
	v_cmp_ge_i32_e32 vcc_lo, v0, v7
	s_and_b32 s1, vcc_lo, exec_lo
	s_or_b32 s0, s0, s1
	s_movk_i32 s1, 0x1010
	scratch_store_b32 off, v72, s1 offset:4
.LBB7_47:                               ;   in Loop: Header=BB7_15 Depth=1
                                        ; implicit-def: $vgpr121 : SGPR spill to VGPR lane
	v_writelane_b32 v122, s28, 31
	v_writelane_b32 v121, s27, 0
	;; [unrolled: 1-line block ×15, first 2 shown]
	s_or_b32 exec_lo, exec_lo, s2
	s_mov_b32 s1, -1
	s_mov_b32 s2, exec_lo
	s_delay_alu instid0(SALU_CYCLE_1)
	s_and_b32 s0, s2, s0
	v_writelane_b32 v121, s2, 14
	s_mov_b32 exec_lo, s0
	s_cbranch_execz .LBB7_11
; %bb.48:                               ;   in Loop: Header=BB7_15 Depth=1
	v_writelane_b32 v121, s21, 15
	s_mov_b32 s0, -1
	s_mov_b32 s1, 0
	s_mov_b32 s2, 0
	;; [unrolled: 1-line block ×3, first 2 shown]
	v_writelane_b32 v121, s19, 16
	s_mov_b32 s4, 0
	s_mov_b32 s6, 0
	s_mov_b32 s7, -1
	s_mov_b32 s10, 0
	v_writelane_b32 v121, s17, 17
	s_mov_b32 s12, 0
	s_mov_b32 s14, 0
	s_mov_b32 s16, 0
	s_mov_b32 s17, 0
	v_writelane_b32 v121, s15, 18
	s_mov_b32 s15, 0
	s_mov_b32 s18, 0
	s_mov_b32 s19, 0
	;; [unrolled: 5-line block ×5, first 2 shown]
	s_movk_i32 s21, 0x1010
	v_writelane_b32 v121, s9, 22
	s_mov_b32 s9, 0
	v_cmp_gt_i32_e32 vcc_lo, 16, v58
	scratch_store_b32 off, v7, s21
	v_writelane_b32 v121, s5, 23
	s_mov_b32 s5, 0
	v_writelane_b32 v121, s30, 24
	s_mov_b32 s30, 0
	s_mov_b32 s21, exec_lo
	s_delay_alu instid0(SALU_CYCLE_1) | instskip(SKIP_1) | instid1(SALU_CYCLE_1)
	v_writelane_b32 v121, s21, 25
	s_and_b32 s21, s21, vcc_lo
	s_mov_b32 exec_lo, s21
	s_cbranch_execz .LBB7_10
; %bb.49:                               ;   in Loop: Header=BB7_15 Depth=1
	s_mov_b32 s0, 0x9018
	s_mov_b32 s56, 0
	scratch_store_b32 off, v58, s0
	s_mov_b32 s0, 0
	s_mov_b32 s53, 0
	s_mov_b32 s1, exec_lo
                                        ; implicit-def: $vgpr6
	v_cmpx_lt_i32_e32 0, v7
	s_xor_b32 s1, exec_lo, s1
	s_cbranch_execz .LBB7_55
; %bb.50:                               ;   in Loop: Header=BB7_15 Depth=1
	s_mov_b32 s0, -1
	s_mov_b32 s2, exec_lo
                                        ; implicit-def: $vgpr6
	v_cmpx_eq_u32_e32 1, v7
	s_cbranch_execz .LBB7_54
; %bb.51:                               ;   in Loop: Header=BB7_15 Depth=1
	s_movk_i32 s0, 0x1010
                                        ; implicit-def: $vgpr6
	scratch_load_b32 v0, off, s0 offset:4
	s_waitcnt vmcnt(0)
	v_cmp_ne_u32_e32 vcc_lo, 0, v0
	v_cmp_eq_u32_e64 s0, 0, v0
	s_delay_alu instid0(VALU_DEP_1) | instskip(NEXT) | instid1(SALU_CYCLE_1)
	s_and_saveexec_b32 s4, s0
	s_xor_b32 s0, exec_lo, s4
; %bb.52:                               ;   in Loop: Header=BB7_15 Depth=1
	v_dual_mov_b32 v73, v72 :: v_dual_add_nc_u32 v6, 1, v58
	v_lshl_add_u32 v0, v58, 3, v61
	s_mov_b32 s3, exec_lo
	s_mov_b32 s4, 0x9018
	s_clause 0x1
	scratch_store_b32 off, v6, s4
	scratch_store_b64 v0, v[72:73], off
; %bb.53:                               ;   in Loop: Header=BB7_15 Depth=1
	s_or_b32 exec_lo, exec_lo, s0
	s_delay_alu instid0(SALU_CYCLE_1)
	s_and_b32 s3, s3, exec_lo
	s_or_not1_b32 s0, vcc_lo, exec_lo
.LBB7_54:                               ;   in Loop: Header=BB7_15 Depth=1
	s_or_b32 exec_lo, exec_lo, s2
	s_delay_alu instid0(SALU_CYCLE_1)
	s_and_b32 s53, s3, exec_lo
	s_and_b32 s0, s0, exec_lo
.LBB7_55:                               ;   in Loop: Header=BB7_15 Depth=1
	s_and_not1_saveexec_b32 s1, s1
; %bb.56:                               ;   in Loop: Header=BB7_15 Depth=1
	v_cmp_ne_u32_e32 vcc_lo, 0, v7
	s_and_not1_b32 s0, s0, exec_lo
	s_mov_b32 s56, exec_lo
                                        ; implicit-def: $vgpr6
	s_and_b32 s2, vcc_lo, exec_lo
	s_delay_alu instid0(SALU_CYCLE_1)
	s_or_b32 s0, s0, s2
; %bb.57:                               ;   in Loop: Header=BB7_15 Depth=1
	s_or_b32 exec_lo, exec_lo, s1
	v_dual_mov_b32 v89, v6 :: v_dual_lshlrev_b32 v0, 4, v94
	v_readlane_b32 s4, v123, 5
	s_mov_b32 s1, -1
	v_readlane_b32 s6, v123, 7
	s_delay_alu instid0(VALU_DEP_3)
	v_ashrrev_i32_e32 v1, 31, v0
	v_writelane_b32 v121, s1, 26
	v_readlane_b32 s7, v123, 8
	s_mov_b32 s1, 0
	s_mov_b32 s33, 0
	v_lshlrev_b64 v[0:1], 2, v[0:1]
	v_writelane_b32 v121, s1, 27
	v_readlane_b32 s5, v123, 6
	v_readlane_b32 s8, v123, 9
	v_readlane_b32 s9, v123, 10
	v_readlane_b32 s10, v123, 11
	v_add_co_u32 v104, vcc_lo, s6, v0
	v_add_co_ci_u32_e32 v105, vcc_lo, s7, v1, vcc_lo
	v_readlane_b32 s11, v123, 12
	v_writelane_b32 v121, s1, 28
	s_and_saveexec_b32 s57, s0
	s_cbranch_execz .LBB7_77
; %bb.58:                               ;   in Loop: Header=BB7_15 Depth=1
	v_mov_b32_e32 v0, 0
	v_mov_b32_e32 v1, 0
	s_mov_b32 s2, -1
	s_mov_b32 s59, -1
	s_mov_b32 s58, 0
	s_mov_b32 s0, exec_lo
	ds_store_b32 v44, v72 offset:4
	v_cmpx_lt_i32_e32 0, v7
	s_cbranch_execz .LBB7_62
; %bb.59:                               ;   in Loop: Header=BB7_15 Depth=1
	v_mov_b32_e32 v0, 0
	v_mov_b32_e32 v1, 0
	s_mov_b32 s2, 0
	s_mov_b32 s3, exec_lo
	v_cmpx_gt_u32_e32 0x1001, v7
	s_cbranch_execz .LBB7_61
; %bb.60:                               ;   in Loop: Header=BB7_15 Depth=1
	v_lshl_add_u32 v0, v7, 3, 0x1010
	v_lshlrev_b32_e32 v1, 2, v7
	s_mov_b64 s[4:5], src_private_base
	v_lshlrev_b32_e32 v2, 1, v7
	s_mov_b32 s2, exec_lo
	s_movk_i32 s4, 0x1010
	v_sub_nc_u32_e32 v0, v0, v1
	v_mov_b32_e32 v1, s5
	scratch_store_b32 off, v2, s4
	v_add_nc_u32_e32 v0, 4, v0
.LBB7_61:                               ;   in Loop: Header=BB7_15 Depth=1
	s_or_b32 exec_lo, exec_lo, s3
	s_delay_alu instid0(SALU_CYCLE_1)
	s_mov_b32 s58, exec_lo
	s_xor_b32 s59, exec_lo, -1
	s_or_not1_b32 s2, s2, exec_lo
.LBB7_62:                               ;   in Loop: Header=BB7_15 Depth=1
	s_or_b32 exec_lo, exec_lo, s0
	s_mov_b32 s0, s53
	s_mov_b32 s4, 0
                                        ; implicit-def: $vgpr6
                                        ; implicit-def: $vgpr89
	s_and_saveexec_b32 s60, s2
	s_cbranch_execz .LBB7_76
; %bb.63:                               ;   in Loop: Header=BB7_15 Depth=1
	s_mov_b32 s1, exec_lo
	ds_store_b64 v44, v[0:1] offset:8
	v_cmpx_lt_i32_e32 0, v7
	s_cbranch_execz .LBB7_67
; %bb.64:                               ;   in Loop: Header=BB7_15 Depth=1
	v_mov_b32_e32 v2, v7
	v_readlane_b32 s3, v123, 29
	s_mov_b32 s2, 0
	.p2align	6
.LBB7_65:                               ;   Parent Loop BB7_15 Depth=1
                                        ; =>  This Inner Loop Header: Depth=2
	scratch_load_b32 v3, off, s3
	v_add_nc_u32_e32 v2, -1, v2
	s_add_i32 s3, s3, 4
	s_delay_alu instid0(VALU_DEP_1) | instskip(SKIP_3) | instid1(VALU_DEP_1)
	v_cmp_eq_u32_e32 vcc_lo, 0, v2
	s_or_b32 s2, vcc_lo, s2
	s_waitcnt vmcnt(0)
	v_lshrrev_b32_e32 v4, 1, v3
	v_or_b32_e32 v4, v4, v3
	s_delay_alu instid0(VALU_DEP_1) | instskip(NEXT) | instid1(VALU_DEP_1)
	v_and_b32_e32 v4, 0x55555555, v4
	v_lshl_add_u32 v4, v4, 1, v4
	s_delay_alu instid0(VALU_DEP_1) | instskip(SKIP_2) | instid1(VALU_DEP_1)
	v_xor_b32_e32 v3, v4, v3
	flat_store_b32 v[0:1], v3
	v_add_co_u32 v0, s0, v0, 4
	v_add_co_ci_u32_e64 v1, s0, 0, v1, s0
	s_and_not1_b32 exec_lo, exec_lo, s2
	s_cbranch_execnz .LBB7_65
; %bb.66:                               ;   in Loop: Header=BB7_15 Depth=1
	s_or_b32 exec_lo, exec_lo, s2
	ds_store_b32 v44, v7 offset:4
.LBB7_67:                               ;   in Loop: Header=BB7_15 Depth=1
	s_or_b32 exec_lo, exec_lo, s1
	s_movk_i32 s2, 0x1010
	s_delay_alu instid0(SALU_CYCLE_1) | instskip(SKIP_4) | instid1(VALU_DEP_4)
	v_dual_mov_b32 v0, v44 :: v_dual_mov_b32 v3, s2
	v_readlane_b32 s2, v123, 31
	v_readlane_b32 s0, v123, 0
	;; [unrolled: 1-line block ×3, first 2 shown]
	v_dual_mov_b32 v1, v41 :: v_dual_lshlrev_b32 v2, 1, v58
	v_mov_b32_e32 v4, s2
	s_mov_b32 s2, 0x9018
	s_add_u32 s8, s0, 0x80
	v_mov_b32_e32 v5, s2
	v_readlane_b32 s2, v122, 0
	s_addc_u32 s9, s1, 0
	s_getpc_b64 s[0:1]
	s_add_u32 s0, s0, _ZN3sop12sopFactorRecEPNS_3SopEiP7VecsMemIjLi8192EEPN8subgUtil4SubgILi256EEE@rel32@lo+4
	s_addc_u32 s1, s1, _ZN3sop12sopFactorRecEPNS_3SopEiP7VecsMemIjLi8192EEPN8subgUtil4SubgILi256EEE@rel32@hi+12
	v_mov_b32_e32 v6, s2
	s_swappc_b64 s[30:31], s[0:1]
	s_mov_b32 s0, 0x9018
	v_ashrrev_i32_e32 v1, 1, v0
	scratch_load_b32 v6, off, s0
	s_mov_b32 s0, s53
	s_mov_b32 s1, exec_lo
                                        ; implicit-def: $vgpr89
	v_cmpx_ge_i32_e64 v1, v58
	s_xor_b32 s1, exec_lo, s1
; %bb.68:                               ;   in Loop: Header=BB7_15 Depth=1
	v_add_nc_u32_e32 v89, 1, v58
	s_or_b32 s0, s53, exec_lo
                                        ; implicit-def: $vgpr1
                                        ; implicit-def: $vgpr0
; %bb.69:                               ;   in Loop: Header=BB7_15 Depth=1
	s_or_saveexec_b32 s1, s1
	s_mov_b32 s2, 0
	s_mov_b32 s6, s59
	;; [unrolled: 1-line block ×4, first 2 shown]
	s_xor_b32 exec_lo, exec_lo, s1
	s_cbranch_execz .LBB7_75
; %bb.70:                               ;   in Loop: Header=BB7_15 Depth=1
	s_waitcnt vmcnt(0)
	v_cmp_eq_u32_e32 vcc_lo, v6, v58
	s_mov_b32 s6, -1
	s_mov_b32 s3, 0
	s_mov_b32 s4, s0
                                        ; implicit-def: $vgpr6
	s_and_saveexec_b32 s2, vcc_lo
	s_cbranch_execz .LBB7_74
; %bb.71:                               ;   in Loop: Header=BB7_15 Depth=1
	v_ashrrev_i32_e32 v2, 31, v1
	s_mov_b32 s4, s0
	s_mov_b32 s3, exec_lo
                                        ; implicit-def: $vgpr6
	s_delay_alu instid0(VALU_DEP_1) | instskip(NEXT) | instid1(VALU_DEP_1)
	v_lshlrev_b64 v[1:2], 2, v[1:2]
	v_add_co_u32 v1, vcc_lo, v104, v1
	s_delay_alu instid0(VALU_DEP_2) | instskip(SKIP_3) | instid1(VALU_DEP_1)
	v_add_co_ci_u32_e32 v2, vcc_lo, v105, v2, vcc_lo
	global_load_b32 v1, v[1:2], off
	s_waitcnt vmcnt(0)
	v_lshlrev_b32_e32 v1, 1, v1
	v_cmpx_lt_i32_e32 -1, v1
	s_xor_b32 s3, exec_lo, s3
; %bb.72:                               ;   in Loop: Header=BB7_15 Depth=1
	v_and_b32_e32 v0, 1, v0
	v_add_nc_u32_e32 v6, 1, v58
	v_lshl_add_u32 v2, v58, 3, v61
	s_mov_b32 s5, 0x9018
	s_or_b32 s4, s0, exec_lo
	v_or_b32_e32 v1, v1, v0
	s_delay_alu instid0(VALU_DEP_1)
	v_lshl_or_b32 v0, v1, 1, v0
	s_clause 0x1
	scratch_store_b32 off, v6, s5
	scratch_store_b64 v2, v[0:1], off
; %bb.73:                               ;   in Loop: Header=BB7_15 Depth=1
	s_or_b32 exec_lo, exec_lo, s3
	s_delay_alu instid0(SALU_CYCLE_1)
	s_and_not1_b32 s5, s0, exec_lo
	s_and_b32 s4, s4, exec_lo
	s_mov_b32 s3, exec_lo
	s_xor_b32 s6, exec_lo, -1
	s_or_b32 s4, s5, s4
.LBB7_74:                               ;   in Loop: Header=BB7_15 Depth=1
	s_or_b32 exec_lo, exec_lo, s2
	v_mov_b32_e32 v89, v6
	s_and_not1_b32 s0, s0, exec_lo
	s_and_b32 s4, s4, exec_lo
	s_and_b32 s5, s3, exec_lo
	;; [unrolled: 1-line block ×3, first 2 shown]
	s_and_not1_b32 s3, s58, exec_lo
	s_and_not1_b32 s6, s59, exec_lo
	s_or_b32 s0, s0, s4
.LBB7_75:                               ;   in Loop: Header=BB7_15 Depth=1
	s_or_b32 exec_lo, exec_lo, s1
	s_delay_alu instid0(SALU_CYCLE_1)
	s_and_b32 s4, s5, exec_lo
	s_and_not1_b32 s5, s58, exec_lo
	s_and_b32 s3, s3, exec_lo
	s_and_b32 s1, s2, exec_lo
	s_or_b32 s58, s5, s3
	s_and_not1_b32 s2, s59, exec_lo
	s_and_b32 s3, s6, exec_lo
	s_and_not1_b32 s5, s53, exec_lo
	s_and_b32 s0, s0, exec_lo
	s_or_b32 s59, s2, s3
	s_or_b32 s0, s5, s0
.LBB7_76:                               ;   in Loop: Header=BB7_15 Depth=1
	s_or_b32 exec_lo, exec_lo, s60
	s_delay_alu instid0(SALU_CYCLE_1)
	s_and_b32 s2, s4, exec_lo
	s_and_b32 s33, s1, exec_lo
	v_writelane_b32 v121, s2, 28
	s_and_b32 s1, s58, exec_lo
	s_and_b32 s0, s0, exec_lo
	s_or_not1_b32 s2, s59, exec_lo
	s_and_not1_b32 s56, s56, exec_lo
	v_writelane_b32 v121, s1, 27
	s_and_not1_b32 s1, s53, exec_lo
	s_delay_alu instid0(SALU_CYCLE_1)
	s_or_b32 s53, s1, s0
	v_writelane_b32 v121, s2, 26
.LBB7_77:                               ;   in Loop: Header=BB7_15 Depth=1
	s_or_b32 exec_lo, exec_lo, s57
	s_and_saveexec_b32 s0, s56
	s_cbranch_execz .LBB7_79
; %bb.78:                               ;   in Loop: Header=BB7_15 Depth=1
	s_waitcnt vmcnt(0)
	v_add_nc_u32_e32 v6, 1, v58
	v_lshl_add_u32 v0, v58, 3, v61
	s_or_b32 s53, s53, exec_lo
	s_mov_b32 s1, 0x9018
	s_clause 0x1
	scratch_store_b32 off, v6, s1
	scratch_store_b64 v0, v[90:91], off
	v_mov_b32_e32 v89, v6
.LBB7_79:                               ;   in Loop: Header=BB7_15 Depth=1
	s_or_b32 exec_lo, exec_lo, s0
	s_mov_b32 s0, -1
	s_mov_b32 s1, 0
	s_mov_b32 s2, 0
	;; [unrolled: 1-line block ×25, first 2 shown]
	s_mov_b32 s26, exec_lo
	s_delay_alu instid0(SALU_CYCLE_1) | instskip(SKIP_1) | instid1(SALU_CYCLE_1)
	v_writelane_b32 v121, s26, 29
	s_and_b32 s26, s26, s53
	s_mov_b32 exec_lo, s26
	s_cbranch_execz .LBB7_9
; %bb.80:                               ;   in Loop: Header=BB7_15 Depth=1
	s_waitcnt vmcnt(0)
	v_cmp_ne_u32_e64 s0, v6, v89
	v_writelane_b32 v121, s33, 30
	s_mov_b32 s26, 0
	s_mov_b32 s33, 0
	s_mov_b32 s1, exec_lo
                                        ; implicit-def: $sgpr2
	v_cmpx_eq_u32_e64 v6, v89
	s_cbranch_execz .LBB7_82
; %bb.81:                               ;   in Loop: Header=BB7_15 Depth=1
	v_lshl_add_u32 v0, v58, 3, v61
	s_and_not1_b32 s0, s0, exec_lo
	s_mov_b32 s33, exec_lo
	s_mov_b32 s2, 0
	scratch_load_b64 v[0:1], v0, off
	s_waitcnt vmcnt(0)
	v_lshrrev_b32_e32 v0, 1, v0
	s_delay_alu instid0(VALU_DEP_1) | instskip(SKIP_1) | instid1(SALU_CYCLE_1)
	v_cmp_ne_u32_e32 vcc_lo, v0, v1
	s_and_b32 s3, vcc_lo, exec_lo
	s_or_b32 s0, s0, s3
.LBB7_82:                               ;   in Loop: Header=BB7_15 Depth=1
	s_or_b32 exec_lo, exec_lo, s1
	v_readlane_b32 s21, v121, 30
	v_readlane_b32 s7, v121, 26
	;; [unrolled: 1-line block ×3, first 2 shown]
                                        ; implicit-def: $vgpr120 : SGPR spill to VGPR lane
	v_mov_b32_e32 v78, s2
	s_mov_b32 s28, 0
	v_writelane_b32 v121, s21, 31
	s_mov_b32 s27, 0
	s_mov_b32 s30, 0
	;; [unrolled: 1-line block ×3, first 2 shown]
	s_delay_alu instid0(VALU_DEP_1) | instskip(NEXT) | instid1(VALU_DEP_1)
	v_readlane_b32 s1, v121, 28
	v_writelane_b32 v120, s1, 0
	s_mov_b32 s1, 0
	s_delay_alu instid0(SALU_CYCLE_1)
	v_writelane_b32 v120, s1, 1
	v_writelane_b32 v120, s1, 2
	v_writelane_b32 v120, s1, 3
	v_writelane_b32 v120, s1, 4
	v_writelane_b32 v120, s1, 5
	v_writelane_b32 v120, s1, 6
	v_writelane_b32 v120, s1, 7
	v_writelane_b32 v120, s1, 8
	v_writelane_b32 v120, s1, 9
	v_writelane_b32 v120, s1, 10
	v_writelane_b32 v120, s1, 11
	v_writelane_b32 v120, s1, 12
	v_writelane_b32 v120, s1, 13
	v_writelane_b32 v120, s1, 14
	v_writelane_b32 v120, s1, 15
	v_writelane_b32 v120, s1, 16
	s_and_saveexec_b32 s1, s0
                                        ; implicit-def: $vgpr111 : SGPR spill to VGPR lane
	s_cbranch_execz .LBB7_121
; %bb.83:                               ;   in Loop: Header=BB7_15 Depth=1
	v_cmp_lt_i32_e32 vcc_lo, 0, v58
	v_writelane_b32 v120, s1, 17
	s_and_saveexec_b32 s0, vcc_lo
	v_readlane_b32 s4, v123, 17
	v_readlane_b32 s5, v123, 18
	;; [unrolled: 1-line block ×8, first 2 shown]
	s_cbranch_execz .LBB7_86
; %bb.84:                               ;   in Loop: Header=BB7_15 Depth=1
	v_dual_mov_b32 v3, 0x810 :: v_dual_mov_b32 v0, v104
	v_dual_mov_b32 v2, 0xc10 :: v_dual_mov_b32 v1, v105
	v_mov_b32_e32 v4, v58
	s_mov_b32 s1, 0
	.p2align	6
.LBB7_85:                               ;   Parent Loop BB7_15 Depth=1
                                        ; =>  This Inner Loop Header: Depth=2
	global_load_b32 v7, v[0:1], off
	v_add_nc_u32_e32 v4, -1, v4
	s_waitcnt vmcnt(0)
	v_ashrrev_i32_e32 v8, 31, v7
	scratch_store_b32 v3, v7, off
	v_add_nc_u32_e32 v3, 4, v3
	v_lshlrev_b64 v[8:9], 2, v[7:8]
	s_delay_alu instid0(VALU_DEP_1) | instskip(NEXT) | instid1(VALU_DEP_2)
	v_add_co_u32 v8, vcc_lo, s4, v8
	v_add_co_ci_u32_e32 v9, vcc_lo, s5, v9, vcc_lo
	v_add_co_u32 v0, vcc_lo, v0, 4
	v_add_co_ci_u32_e32 v1, vcc_lo, 0, v1, vcc_lo
	global_load_b32 v5, v[8:9], off
	v_cmp_eq_u32_e32 vcc_lo, 0, v4
	s_or_b32 s1, vcc_lo, s1
	s_waitcnt vmcnt(0)
	scratch_store_b32 v2, v5, off
	v_add_nc_u32_e32 v2, 4, v2
	s_and_not1_b32 exec_lo, exec_lo, s1
	s_cbranch_execnz .LBB7_85
.LBB7_86:                               ;   in Loop: Header=BB7_15 Depth=1
	s_or_b32 exec_lo, exec_lo, s0
	v_mov_b32_e32 v0, 0
	v_readlane_b32 s12, v121, 26
	v_readlane_b32 s13, v121, 27
	;; [unrolled: 1-line block ×4, first 2 shown]
	s_mov_b32 s11, -1
	s_mov_b32 s0, 0
	s_mov_b32 s1, 0
	;; [unrolled: 1-line block ×26, first 2 shown]
	v_cmp_gt_i32_e32 vcc_lo, v6, v58
                                        ; implicit-def: $vgpr78
	s_mov_b32 s18, exec_lo
	s_delay_alu instid0(SALU_CYCLE_1) | instskip(SKIP_1) | instid1(SALU_CYCLE_1)
	v_writelane_b32 v120, s18, 24
	s_and_b32 s18, s18, vcc_lo
	s_mov_b32 exec_lo, s18
	s_cbranch_execz .LBB7_118
; %bb.87:                               ;   in Loop: Header=BB7_15 Depth=1
                                        ; implicit-def: $sgpr0
                                        ; kill: killed $sgpr0
	v_dual_mov_b32 v7, 0 :: v_dual_mov_b32 v8, v58
                                        ; implicit-def: $sgpr0
                                        ; kill: killed $sgpr0
                                        ; implicit-def: $sgpr0
                                        ; kill: killed $sgpr0
	;; [unrolled: 2-line block ×4, first 2 shown]
                                        ; implicit-def: $sgpr0
	s_mov_b32 s38, 0
                                        ; kill: killed $sgpr0
                                        ; implicit-def: $sgpr0
                                        ; kill: killed $sgpr0
                                        ; implicit-def: $sgpr0
	v_writelane_b32 v120, s33, 25
                                        ; implicit-def: $sgpr37
                                        ; implicit-def: $sgpr36
                                        ; implicit-def: $sgpr34
                                        ; implicit-def: $sgpr35
                                        ; implicit-def: $sgpr31
                                        ; implicit-def: $sgpr33
                                        ; implicit-def: $sgpr29
                                        ; implicit-def: $sgpr30
                                        ; implicit-def: $sgpr27
                                        ; implicit-def: $sgpr28
                                        ; implicit-def: $sgpr25
                                        ; implicit-def: $sgpr26
                                        ; implicit-def: $sgpr23
                                        ; implicit-def: $sgpr24
                                        ; implicit-def: $sgpr21
                                        ; implicit-def: $sgpr22
                                        ; implicit-def: $sgpr19
                                        ; implicit-def: $sgpr20
                                        ; implicit-def: $sgpr17
                                        ; implicit-def: $sgpr18
                                        ; implicit-def: $sgpr16
                                        ; kill: killed $sgpr0
                                        ; implicit-def: $sgpr0
                                        ; kill: killed $sgpr0
                                        ; implicit-def: $sgpr67
                                        ; implicit-def: $sgpr39
                                        ; implicit-def: $sgpr41
                                        ; implicit-def: $sgpr40
                                        ; implicit-def: $sgpr43
                                        ; implicit-def: $sgpr42
                                        ; implicit-def: $sgpr45
                                        ; implicit-def: $sgpr44
                                        ; implicit-def: $sgpr47
                                        ; implicit-def: $sgpr46
                                        ; implicit-def: $sgpr49
                                        ; implicit-def: $sgpr48
                                        ; implicit-def: $sgpr51
                                        ; implicit-def: $sgpr50
                                        ; implicit-def: $sgpr53
                                        ; implicit-def: $sgpr52
                                        ; implicit-def: $sgpr55
                                        ; implicit-def: $sgpr54
                                        ; implicit-def: $sgpr57
                                        ; implicit-def: $sgpr56
                                        ; implicit-def: $sgpr59
                                        ; implicit-def: $sgpr58
                                        ; implicit-def: $sgpr5
                                        ; implicit-def: $vcc_hi
                                        ; implicit-def: $sgpr3
                                        ; implicit-def: $sgpr4
                                        ; implicit-def: $sgpr60
                                        ; implicit-def: $sgpr91
                                        ; implicit-def: $sgpr85
                                        ; implicit-def: $sgpr61
                                        ; implicit-def: $sgpr65
                                        ; implicit-def: $sgpr64
                                        ; implicit-def: $sgpr66
	s_branch .LBB7_93
.LBB7_88:                               ;   in Loop: Header=BB7_93 Depth=2
	s_or_b32 exec_lo, exec_lo, s12
	v_mov_b32_e32 v78, -1
	s_and_not1_b32 s7, s7, exec_lo
	s_and_b32 s11, s11, exec_lo
	s_and_not1_b32 s8, s8, exec_lo
	s_or_b32 s7, s7, s11
	s_or_not1_b32 s11, s10, exec_lo
.LBB7_89:                               ;   in Loop: Header=BB7_93 Depth=2
	s_or_b32 exec_lo, exec_lo, s9
	s_delay_alu instid0(SALU_CYCLE_1)
	s_and_not1_b32 s0, s0, exec_lo
	s_and_b32 s7, s7, exec_lo
	s_and_not1_b32 s1, s1, exec_lo
	s_and_b32 s8, s8, exec_lo
	s_or_b32 s0, s0, s7
	s_or_b32 s1, s1, s8
	s_or_not1_b32 s68, s11, exec_lo
.LBB7_90:                               ;   in Loop: Header=BB7_93 Depth=2
	s_or_b32 exec_lo, exec_lo, s6
	s_delay_alu instid0(SALU_CYCLE_1)
	s_and_b32 s15, s0, exec_lo
	s_mov_b32 s0, s68
	s_or_not1_b32 s74, s1, exec_lo
	s_and_b32 s14, s69, exec_lo
	s_and_b32 s13, s69, exec_lo
	;; [unrolled: 1-line block ×11, first 2 shown]
	s_or_not1_b32 s7, s2, exec_lo
	s_and_b32 s96, s69, exec_lo
	s_and_b32 s95, s69, exec_lo
	s_and_b32 s6, s69, exec_lo
	s_and_b32 s94, s69, exec_lo
	s_and_b32 s104, s69, exec_lo
	s_and_b32 s103, s69, exec_lo
	s_and_b32 s102, s69, exec_lo
	s_and_b32 s101, s69, exec_lo
	s_and_b32 s100, s69, exec_lo
	s_and_b32 s99, s69, exec_lo
	s_and_b32 s92, s69, exec_lo
	s_and_b32 s87, s69, exec_lo
	s_and_b32 s68, s69, exec_lo
	s_and_b32 s70, s69, exec_lo
	s_and_b32 s71, s69, exec_lo
	s_and_b32 s2, s69, exec_lo
	s_and_b32 s1, s69, exec_lo
	s_or_not1_b32 s0, s0, exec_lo
.LBB7_91:                               ;   in Loop: Header=BB7_93 Depth=2
	s_delay_alu instid0(VALU_DEP_1) | instskip(NEXT) | instid1(VALU_DEP_1)
	v_readlane_b32 s69, v120, 27
	s_or_b32 exec_lo, exec_lo, s69
	s_delay_alu instid0(SALU_CYCLE_1)
	s_and_not1_b32 s66, s66, exec_lo
	s_and_b32 s15, s15, exec_lo
	s_and_b32 s14, s14, exec_lo
	s_or_b32 s66, s66, s15
	s_and_not1_b32 s15, s65, exec_lo
	s_and_not1_b32 s61, s61, exec_lo
	s_and_b32 s13, s13, exec_lo
	s_or_b32 s65, s15, s14
	s_or_b32 s61, s61, s13
	s_and_not1_b32 s13, s85, exec_lo
	s_and_b32 s14, s73, exec_lo
	s_and_b32 s12, s12, exec_lo
	s_or_b32 s85, s13, s14
	s_and_not1_b32 s13, s60, exec_lo
	s_and_not1_b32 s4, s4, exec_lo
	s_and_b32 s11, s11, exec_lo
	s_or_b32 s60, s13, s12
	s_or_b32 s4, s4, s11
	s_and_not1_b32 s3, s3, exec_lo
	s_and_b32 s11, s93, exec_lo
	s_and_not1_b32 s12, vcc_hi, exec_lo
	s_and_b32 s10, s10, exec_lo
	s_or_b32 s3, s3, s11
	s_or_b32 vcc_hi, s12, s10
	s_and_not1_b32 s5, s5, exec_lo
	s_and_b32 s9, s9, exec_lo
	s_and_not1_b32 s10, s58, exec_lo
	s_and_b32 s11, s97, exec_lo
	s_or_b32 s5, s5, s9
	s_or_b32 s58, s10, s11
	s_and_not1_b32 s9, s59, exec_lo
	s_and_b32 s8, s8, exec_lo
	s_and_not1_b32 s10, s56, exec_lo
	s_and_b32 s7, s7, exec_lo
	s_or_b32 s59, s9, s8
	s_or_b32 s56, s10, s7
	;; [unrolled: 6-line block ×8, first 2 shown]
	s_and_not1_b32 s6, s45, exec_lo
	s_and_b32 s7, s68, exec_lo
	s_and_not1_b32 s8, s42, exec_lo
	s_and_b32 s9, s70, exec_lo
	;; [unrolled: 2-line block ×3, first 2 shown]
	s_or_b32 s45, s6, s7
	s_or_b32 s42, s8, s9
	s_and_not1_b32 s6, s43, exec_lo
	s_and_b32 s7, s71, exec_lo
	s_and_not1_b32 s8, s40, exec_lo
	s_and_b32 s2, s2, exec_lo
	s_or_b32 s64, s64, s69
	s_and_not1_b32 s15, s91, exec_lo
	s_and_b32 s69, s72, exec_lo
	s_or_b32 s43, s6, s7
	s_or_b32 s40, s8, s2
	s_and_not1_b32 s2, s41, exec_lo
	s_and_b32 s1, s1, exec_lo
	s_and_not1_b32 s6, s39, exec_lo
	s_and_b32 s0, s0, exec_lo
	s_or_b32 s91, s15, s69
	s_or_b32 s41, s2, s1
	;; [unrolled: 1-line block ×3, first 2 shown]
.LBB7_92:                               ;   in Loop: Header=BB7_93 Depth=2
	s_or_b32 exec_lo, exec_lo, s67
	s_xor_b32 s0, s66, -1
	s_xor_b32 s1, s64, -1
	s_and_b32 s2, exec_lo, s39
	v_readlane_b32 s7, v120, 29
	s_or_b32 s38, s2, s38
	v_readlane_b32 s2, v120, 26
	s_and_b32 s6, s65, exec_lo
	s_and_b32 s8, s85, exec_lo
	s_and_not1_b32 s7, s7, exec_lo
	s_and_b32 s0, s0, exec_lo
	s_and_not1_b32 s2, s2, exec_lo
	s_and_b32 s1, s1, exec_lo
	s_or_b32 s67, s2, s6
	v_readlane_b32 s2, v120, 28
	s_and_b32 s6, s61, exec_lo
	s_delay_alu instid0(VALU_DEP_1) | instskip(NEXT) | instid1(SALU_CYCLE_1)
	s_and_not1_b32 s2, s2, exec_lo
	s_or_b32 s2, s2, s6
	s_and_b32 s6, s91, exec_lo
	v_writelane_b32 v120, s2, 28
	s_or_b32 s2, s7, s8
	s_and_b32 s8, s60, exec_lo
	v_writelane_b32 v120, s2, 29
	s_delay_alu instid0(VALU_DEP_1) | instskip(SKIP_1) | instid1(VALU_DEP_2)
	v_readlane_b32 s2, v120, 30
	v_readlane_b32 s7, v120, 31
	s_and_not1_b32 s2, s2, exec_lo
	s_delay_alu instid0(VALU_DEP_1)
	s_and_not1_b32 s7, s7, exec_lo
	s_or_b32 s2, s2, s6
	s_and_b32 s6, s4, exec_lo
	v_writelane_b32 v120, s2, 30
	s_or_b32 s2, s7, s8
	v_readlane_b32 s7, v111, 1
	s_and_b32 s8, s3, exec_lo
	v_writelane_b32 v120, s2, 31
	v_readlane_b32 s2, v111, 0
	s_delay_alu instid0(VALU_DEP_3) | instskip(NEXT) | instid1(VALU_DEP_1)
	s_and_not1_b32 s7, s7, exec_lo
	s_and_not1_b32 s2, s2, exec_lo
	s_delay_alu instid0(SALU_CYCLE_1)
	s_or_b32 s2, s2, s6
	s_and_b32 s6, vcc_hi, exec_lo
	v_writelane_b32 v111, s2, 0
	s_or_b32 s2, s7, s8
	s_and_b32 s8, s5, exec_lo
	v_writelane_b32 v111, s2, 1
	s_delay_alu instid0(VALU_DEP_1) | instskip(SKIP_1) | instid1(VALU_DEP_2)
	v_readlane_b32 s2, v111, 2
	v_readlane_b32 s7, v111, 3
	s_and_not1_b32 s2, s2, exec_lo
	s_delay_alu instid0(VALU_DEP_1)
	s_and_not1_b32 s7, s7, exec_lo
	s_or_b32 s2, s2, s6
	s_and_b32 s6, s58, exec_lo
	v_writelane_b32 v111, s2, 2
	s_or_b32 s2, s7, s8
	s_and_not1_b32 s7, s16, exec_lo
	s_and_b32 s8, s59, exec_lo
	v_writelane_b32 v111, s2, 3
	s_or_b32 s16, s7, s8
	s_and_not1_b32 s7, s17, exec_lo
	s_and_b32 s8, s57, exec_lo
	s_delay_alu instid0(VALU_DEP_1) | instskip(SKIP_3) | instid1(VALU_DEP_1)
	v_readlane_b32 s2, v111, 4
	s_or_b32 s17, s7, s8
	s_and_not1_b32 s7, s19, exec_lo
	s_and_b32 s8, s55, exec_lo
	s_and_not1_b32 s2, s2, exec_lo
	s_or_b32 s19, s7, s8
	s_or_b32 s2, s2, s6
	s_and_b32 s6, s56, exec_lo
	v_writelane_b32 v111, s2, 4
	s_and_not1_b32 s2, s18, exec_lo
	s_and_not1_b32 s7, s21, exec_lo
	s_or_b32 s18, s2, s6
	s_and_not1_b32 s2, s20, exec_lo
	s_and_b32 s6, s54, exec_lo
	s_and_b32 s8, s53, exec_lo
	s_or_b32 s20, s2, s6
	s_and_not1_b32 s2, s22, exec_lo
	s_and_b32 s6, s52, exec_lo
	s_or_b32 s21, s7, s8
	s_or_b32 s22, s2, s6
	s_and_not1_b32 s2, s24, exec_lo
	s_and_b32 s6, s50, exec_lo
	s_and_not1_b32 s7, s23, exec_lo
	s_and_b32 s8, s51, exec_lo
	s_or_b32 s24, s2, s6
	s_and_not1_b32 s2, s26, exec_lo
	s_and_b32 s6, s48, exec_lo
	s_or_b32 s23, s7, s8
	;; [unrolled: 3-line block ×11, first 2 shown]
	s_and_not1_b32 s2, s36, exec_lo
	s_and_not1_b32 s6, s37, exec_lo
	s_or_b32 s34, s7, s8
	s_or_b32 s36, s2, s0
	;; [unrolled: 1-line block ×3, first 2 shown]
	s_and_not1_b32 exec_lo, exec_lo, s38
	s_cbranch_execz .LBB7_115
.LBB7_93:                               ;   Parent Loop BB7_15 Depth=1
                                        ; =>  This Loop Header: Depth=2
                                        ;       Child Loop BB7_103 Depth 3
	s_delay_alu instid0(VALU_DEP_2)
	v_lshl_add_u32 v0, v8, 3, v61
	v_writelane_b32 v120, s67, 26
	s_and_not1_b32 s66, s66, exec_lo
	s_or_b32 s64, s64, exec_lo
	s_and_not1_b32 s65, s65, exec_lo
	scratch_load_b64 v[0:1], v0, off
	s_and_not1_b32 s61, s61, exec_lo
	s_and_not1_b32 s85, s85, exec_lo
	;; [unrolled: 1-line block ×6, first 2 shown]
	s_and_not1_b32 vcc_hi, vcc_hi, exec_lo
	s_and_not1_b32 s5, s5, exec_lo
	s_and_not1_b32 s58, s58, exec_lo
	s_or_b32 s59, s59, exec_lo
	s_and_not1_b32 s56, s56, exec_lo
	s_and_not1_b32 s57, s57, exec_lo
	;; [unrolled: 1-line block ×18, first 2 shown]
	s_or_b32 s39, s39, exec_lo
	s_mov_b32 s67, exec_lo
                                        ; implicit-def: $vgpr78
	s_waitcnt vmcnt(0)
	v_lshrrev_b32_e32 v2, 1, v0
	s_delay_alu instid0(VALU_DEP_1)
	v_cmpx_gt_i32_e64 v2, v1
	s_cbranch_execz .LBB7_92
; %bb.94:                               ;   in Loop: Header=BB7_93 Depth=2
	v_ashrrev_i32_e32 v10, 1, v1
	v_lshrrev_b32_e32 v9, 2, v0
	s_mov_b32 s0, -1
	s_mov_b32 s1, 0
	s_mov_b32 s2, 0
	;; [unrolled: 1-line block ×3, first 2 shown]
	v_max_i32_e32 v2, v9, v10
	s_mov_b32 s70, 0
	s_mov_b32 s68, 0
	;; [unrolled: 1-line block ×4, first 2 shown]
	v_cmp_lt_i32_e32 vcc_lo, v2, v8
	s_mov_b32 s99, 0
	s_mov_b32 s100, 0
	;; [unrolled: 1-line block ×10, first 2 shown]
	s_mov_b32 s7, -1
	s_mov_b32 s8, 0
	s_mov_b32 s97, 0
	;; [unrolled: 1-line block ×11, first 2 shown]
	s_mov_b32 s74, -1
	s_mov_b32 s15, 0
                                        ; implicit-def: $vgpr78
	s_mov_b32 s69, exec_lo
	s_delay_alu instid0(SALU_CYCLE_1) | instskip(SKIP_1) | instid1(SALU_CYCLE_1)
	v_writelane_b32 v120, s69, 27
	s_and_b32 s69, s69, vcc_lo
	s_mov_b32 exec_lo, s69
	s_cbranch_execz .LBB7_91
; %bb.95:                               ;   in Loop: Header=BB7_93 Depth=2
	v_lshl_add_u32 v2, v10, 2, 0x810
	v_lshl_add_u32 v3, v9, 2, 0x810
	v_mov_b32_e32 v4, -1
	s_mov_b32 s68, -1
	s_mov_b32 s69, 0
	s_clause 0x1
	scratch_load_b32 v2, v2, off
	scratch_load_b32 v3, v3, off
	s_mov_b32 s8, -1
	s_mov_b32 s1, -1
                                        ; implicit-def: $sgpr7
	s_waitcnt vmcnt(1)
	v_cmp_ne_u32_e32 vcc_lo, -1, v2
	s_waitcnt vmcnt(0)
	v_cmp_ne_u32_e64 s0, -1, v3
	s_delay_alu instid0(VALU_DEP_1)
	s_and_b32 s2, vcc_lo, s0
	s_mov_b32 s0, 0
	s_and_saveexec_b32 s71, s2
	s_cbranch_execz .LBB7_109
; %bb.96:                               ;   in Loop: Header=BB7_93 Depth=2
	v_and_b32_e32 v1, 1, v1
	v_bfe_u32 v0, v0, 1, 1
	v_readlane_b32 s0, v122, 2
	v_readlane_b32 s1, v122, 3
	s_mov_b32 s0, exec_lo
	v_lshl_or_b32 v2, v2, 1, v1
	v_lshl_or_b32 v0, v3, 1, v0
	s_delay_alu instid0(VALU_DEP_1) | instskip(SKIP_1) | instid1(VALU_DEP_2)
	v_min_i32_e32 v1, v2, v0
	v_max_i32_e32 v0, v2, v0
	v_lshrrev_b32_e32 v2, 1, v1
	v_mul_lo_u32 v5, 0xed558ccd, v1
	s_delay_alu instid0(VALU_DEP_2) | instskip(NEXT) | instid1(VALU_DEP_1)
	v_xor_b32_e32 v4, v0, v2
	v_mul_lo_u32 v11, 0xff51afd7, v4
	v_mad_u64_u32 v[2:3], null, 0xed558ccd, v4, 0
	s_delay_alu instid0(VALU_DEP_1) | instskip(NEXT) | instid1(VALU_DEP_1)
	v_add3_u32 v3, v3, v11, v5
	v_lshrrev_b32_e32 v4, 1, v3
	v_mul_lo_u32 v5, 0x1a85ec53, v3
	s_delay_alu instid0(VALU_DEP_2) | instskip(NEXT) | instid1(VALU_DEP_1)
	v_xor_b32_e32 v4, v4, v2
	v_mul_lo_u32 v11, 0xc4ceb9fe, v4
	v_mad_u64_u32 v[2:3], null, 0x1a85ec53, v4, 0
	s_delay_alu instid0(VALU_DEP_1) | instskip(NEXT) | instid1(VALU_DEP_1)
	v_add3_u32 v4, v3, v11, v5
	v_lshrrev_b32_e32 v3, 1, v4
	v_or_b32_e32 v73, s1, v4
	s_delay_alu instid0(VALU_DEP_2) | instskip(NEXT) | instid1(VALU_DEP_2)
	v_xor_b32_e32 v5, v3, v2
                                        ; implicit-def: $vgpr2_vgpr3
	v_cmpx_ne_u64_e32 0, v[72:73]
	s_xor_b32 s6, exec_lo, s0
	s_cbranch_execz .LBB7_98
; %bb.97:                               ;   in Loop: Header=BB7_93 Depth=2
	v_readlane_b32 s8, v122, 2
	v_readlane_b32 s9, v122, 3
	s_delay_alu instid0(VALU_DEP_2) | instskip(NEXT) | instid1(VALU_DEP_2)
	v_cvt_f32_u32_e32 v2, s8
	v_cvt_f32_u32_e32 v3, s9
	s_sub_u32 s0, 0, s8
	s_subb_u32 s1, 0, s9
	s_delay_alu instid0(VALU_DEP_1) | instskip(NEXT) | instid1(VALU_DEP_1)
	v_fmac_f32_e32 v2, 0x4f800000, v3
	v_rcp_f32_e32 v2, v2
	s_waitcnt_depctr 0xfff
	v_mul_f32_e32 v2, 0x5f7ffffc, v2
	s_delay_alu instid0(VALU_DEP_1) | instskip(NEXT) | instid1(VALU_DEP_1)
	v_mul_f32_e32 v3, 0x2f800000, v2
	v_trunc_f32_e32 v3, v3
	s_delay_alu instid0(VALU_DEP_1) | instskip(SKIP_1) | instid1(VALU_DEP_2)
	v_fmac_f32_e32 v2, 0xcf800000, v3
	v_cvt_u32_f32_e32 v3, v3
	v_cvt_u32_f32_e32 v2, v2
	s_delay_alu instid0(VALU_DEP_2) | instskip(NEXT) | instid1(VALU_DEP_2)
	v_mul_lo_u32 v11, s0, v3
	v_mul_hi_u32 v12, s0, v2
	v_mul_lo_u32 v13, s1, v2
	s_delay_alu instid0(VALU_DEP_2) | instskip(SKIP_1) | instid1(VALU_DEP_2)
	v_add_nc_u32_e32 v11, v12, v11
	v_mul_lo_u32 v12, s0, v2
	v_add_nc_u32_e32 v11, v11, v13
	s_delay_alu instid0(VALU_DEP_2) | instskip(NEXT) | instid1(VALU_DEP_2)
	v_mul_hi_u32 v13, v2, v12
	v_mul_lo_u32 v14, v2, v11
	v_mul_hi_u32 v15, v2, v11
	v_mul_hi_u32 v16, v3, v12
	v_mul_lo_u32 v12, v3, v12
	v_mul_hi_u32 v17, v3, v11
	v_mul_lo_u32 v11, v3, v11
	v_add_co_u32 v13, vcc_lo, v13, v14
	v_add_co_ci_u32_e32 v14, vcc_lo, 0, v15, vcc_lo
	s_delay_alu instid0(VALU_DEP_2) | instskip(NEXT) | instid1(VALU_DEP_2)
	v_add_co_u32 v12, vcc_lo, v13, v12
	v_add_co_ci_u32_e32 v12, vcc_lo, v14, v16, vcc_lo
	v_add_co_ci_u32_e32 v13, vcc_lo, 0, v17, vcc_lo
	s_delay_alu instid0(VALU_DEP_2) | instskip(NEXT) | instid1(VALU_DEP_2)
	v_add_co_u32 v11, vcc_lo, v12, v11
	v_add_co_ci_u32_e32 v12, vcc_lo, 0, v13, vcc_lo
	s_delay_alu instid0(VALU_DEP_2) | instskip(NEXT) | instid1(VALU_DEP_2)
	v_add_co_u32 v2, vcc_lo, v2, v11
	v_add_co_ci_u32_e32 v3, vcc_lo, v3, v12, vcc_lo
	s_delay_alu instid0(VALU_DEP_2) | instskip(SKIP_1) | instid1(VALU_DEP_3)
	v_mul_hi_u32 v11, s0, v2
	v_mul_lo_u32 v13, s1, v2
	v_mul_lo_u32 v12, s0, v3
	s_delay_alu instid0(VALU_DEP_1) | instskip(SKIP_1) | instid1(VALU_DEP_2)
	v_add_nc_u32_e32 v11, v11, v12
	v_mul_lo_u32 v12, s0, v2
	v_add_nc_u32_e32 v11, v11, v13
	s_delay_alu instid0(VALU_DEP_2) | instskip(NEXT) | instid1(VALU_DEP_2)
	v_mul_hi_u32 v13, v2, v12
	v_mul_lo_u32 v14, v2, v11
	v_mul_hi_u32 v15, v2, v11
	v_mul_hi_u32 v16, v3, v12
	v_mul_lo_u32 v12, v3, v12
	v_mul_hi_u32 v17, v3, v11
	v_mul_lo_u32 v11, v3, v11
	v_add_co_u32 v13, vcc_lo, v13, v14
	v_add_co_ci_u32_e32 v14, vcc_lo, 0, v15, vcc_lo
	s_delay_alu instid0(VALU_DEP_2) | instskip(NEXT) | instid1(VALU_DEP_2)
	v_add_co_u32 v12, vcc_lo, v13, v12
	v_add_co_ci_u32_e32 v12, vcc_lo, v14, v16, vcc_lo
	v_add_co_ci_u32_e32 v13, vcc_lo, 0, v17, vcc_lo
	s_delay_alu instid0(VALU_DEP_2) | instskip(NEXT) | instid1(VALU_DEP_2)
	v_add_co_u32 v11, vcc_lo, v12, v11
	v_add_co_ci_u32_e32 v12, vcc_lo, 0, v13, vcc_lo
	s_delay_alu instid0(VALU_DEP_2) | instskip(NEXT) | instid1(VALU_DEP_2)
	v_add_co_u32 v13, vcc_lo, v2, v11
	v_add_co_ci_u32_e32 v15, vcc_lo, v3, v12, vcc_lo
	s_delay_alu instid0(VALU_DEP_2) | instskip(SKIP_1) | instid1(VALU_DEP_3)
	v_mul_hi_u32 v16, v5, v13
	v_mad_u64_u32 v[11:12], null, v4, v13, 0
	v_mad_u64_u32 v[2:3], null, v5, v15, 0
	;; [unrolled: 1-line block ×3, first 2 shown]
	s_delay_alu instid0(VALU_DEP_2) | instskip(NEXT) | instid1(VALU_DEP_3)
	v_add_co_u32 v2, vcc_lo, v16, v2
	v_add_co_ci_u32_e32 v3, vcc_lo, 0, v3, vcc_lo
	s_delay_alu instid0(VALU_DEP_2) | instskip(NEXT) | instid1(VALU_DEP_2)
	v_add_co_u32 v2, vcc_lo, v2, v11
	v_add_co_ci_u32_e32 v2, vcc_lo, v3, v12, vcc_lo
	v_add_co_ci_u32_e32 v3, vcc_lo, 0, v14, vcc_lo
	s_delay_alu instid0(VALU_DEP_2) | instskip(NEXT) | instid1(VALU_DEP_2)
	v_add_co_u32 v11, vcc_lo, v2, v13
	v_add_co_ci_u32_e32 v12, vcc_lo, 0, v3, vcc_lo
	s_delay_alu instid0(VALU_DEP_2) | instskip(SKIP_1) | instid1(VALU_DEP_3)
	v_mul_lo_u32 v13, s9, v11
	v_mad_u64_u32 v[2:3], null, s8, v11, 0
	v_mul_lo_u32 v11, s8, v12
	s_delay_alu instid0(VALU_DEP_2) | instskip(NEXT) | instid1(VALU_DEP_2)
	v_sub_co_u32 v2, vcc_lo, v5, v2
	v_add3_u32 v3, v3, v11, v13
	s_delay_alu instid0(VALU_DEP_2) | instskip(NEXT) | instid1(VALU_DEP_2)
	v_cmp_le_u32_e64 s1, s8, v2
	v_sub_nc_u32_e32 v11, v4, v3
	s_delay_alu instid0(VALU_DEP_1) | instskip(SKIP_2) | instid1(VALU_DEP_3)
	v_subrev_co_ci_u32_e64 v5, s0, s9, v11, vcc_lo
	v_sub_co_u32 v11, s0, v2, s8
	v_sub_co_ci_u32_e32 v3, vcc_lo, v4, v3, vcc_lo
	v_subrev_co_ci_u32_e64 v12, s2, 0, v5, s0
	s_delay_alu instid0(VALU_DEP_3) | instskip(SKIP_1) | instid1(VALU_DEP_4)
	v_cmp_le_u32_e32 vcc_lo, s8, v11
	v_cndmask_b32_e64 v4, 0, -1, s1
	v_cmp_le_u32_e64 s1, s9, v3
	s_delay_alu instid0(VALU_DEP_4) | instskip(SKIP_3) | instid1(VALU_DEP_4)
	v_cmp_le_u32_e64 s2, s9, v12
	v_subrev_co_ci_u32_e64 v5, s0, s9, v5, s0
	v_cndmask_b32_e64 v13, 0, -1, vcc_lo
	v_cmp_eq_u32_e32 vcc_lo, s9, v12
	v_cndmask_b32_e64 v14, 0, -1, s2
	v_cmp_eq_u32_e64 s2, s9, v3
	v_cndmask_b32_e64 v15, 0, -1, s1
	s_delay_alu instid0(VALU_DEP_3) | instskip(SKIP_2) | instid1(VALU_DEP_4)
	v_cndmask_b32_e32 v13, v14, v13, vcc_lo
	v_sub_co_u32 v14, vcc_lo, v11, s8
	v_subrev_co_ci_u32_e32 v5, vcc_lo, 0, v5, vcc_lo
	v_cndmask_b32_e64 v4, v15, v4, s2
	s_delay_alu instid0(VALU_DEP_4) | instskip(NEXT) | instid1(VALU_DEP_2)
	v_cmp_ne_u32_e32 vcc_lo, 0, v13
	v_cmp_ne_u32_e64 s0, 0, v4
	s_delay_alu instid0(VALU_DEP_4) | instskip(NEXT) | instid1(VALU_DEP_1)
	v_dual_cndmask_b32 v4, v12, v5 :: v_dual_cndmask_b32 v5, v11, v14
	v_cndmask_b32_e64 v3, v3, v4, s0
	s_delay_alu instid0(VALU_DEP_2)
	v_cndmask_b32_e64 v2, v2, v5, s0
                                        ; implicit-def: $vgpr5
.LBB7_98:                               ;   in Loop: Header=BB7_93 Depth=2
	s_and_not1_saveexec_b32 s0, s6
	s_cbranch_execz .LBB7_100
; %bb.99:                               ;   in Loop: Header=BB7_93 Depth=2
	v_readlane_b32 s6, v122, 2
	v_readlane_b32 s7, v122, 3
	s_delay_alu instid0(VALU_DEP_2) | instskip(SKIP_1) | instid1(VALU_DEP_1)
	v_cvt_f32_u32_e32 v2, s6
	s_sub_i32 s1, 0, s6
	v_rcp_iflag_f32_e32 v2, v2
	s_waitcnt_depctr 0xfff
	v_mul_f32_e32 v2, 0x4f7ffffe, v2
	s_delay_alu instid0(VALU_DEP_1) | instskip(NEXT) | instid1(VALU_DEP_1)
	v_cvt_u32_f32_e32 v2, v2
	v_mul_lo_u32 v3, s1, v2
	s_delay_alu instid0(VALU_DEP_1) | instskip(NEXT) | instid1(VALU_DEP_1)
	v_mul_hi_u32 v3, v2, v3
	v_add_nc_u32_e32 v2, v2, v3
	s_delay_alu instid0(VALU_DEP_1) | instskip(NEXT) | instid1(VALU_DEP_1)
	v_mul_hi_u32 v2, v5, v2
	v_mul_lo_u32 v2, v2, s6
	s_delay_alu instid0(VALU_DEP_1) | instskip(NEXT) | instid1(VALU_DEP_1)
	v_sub_nc_u32_e32 v2, v5, v2
	v_subrev_nc_u32_e32 v3, s6, v2
	v_cmp_le_u32_e32 vcc_lo, s6, v2
	s_delay_alu instid0(VALU_DEP_2) | instskip(NEXT) | instid1(VALU_DEP_1)
	v_cndmask_b32_e32 v2, v2, v3, vcc_lo
	v_subrev_nc_u32_e32 v3, s6, v2
	v_cmp_le_u32_e32 vcc_lo, s6, v2
	s_delay_alu instid0(VALU_DEP_2)
	v_dual_cndmask_b32 v2, v2, v3 :: v_dual_mov_b32 v3, v72
.LBB7_100:                              ;   in Loop: Header=BB7_93 Depth=2
	s_or_b32 exec_lo, exec_lo, s0
	s_delay_alu instid0(VALU_DEP_1)
	v_lshlrev_b64 v[4:5], 3, v[2:3]
	v_readlane_b32 s8, v123, 13
	v_readlane_b32 s9, v123, 14
	s_mov_b32 s1, -1
	s_mov_b32 s0, exec_lo
	v_readlane_b32 s10, v123, 15
	v_add_co_u32 v4, vcc_lo, s8, v4
	v_add_co_ci_u32_e32 v5, vcc_lo, s9, v5, vcc_lo
	v_readlane_b32 s11, v123, 16
                                        ; implicit-def: $sgpr6
	global_load_b64 v[4:5], v[4:5], off
	s_waitcnt vmcnt(0)
	v_cmpx_ne_u64_e64 v[4:5], v[0:1]
	s_cbranch_execz .LBB7_106
; %bb.101:                              ;   in Loop: Header=BB7_93 Depth=2
	s_mov_b32 s1, 0
                                        ; implicit-def: $sgpr2
                                        ; implicit-def: $sgpr7
                                        ; implicit-def: $sgpr6
	s_set_inst_prefetch_distance 0x1
	s_branch .LBB7_103
	.p2align	6
.LBB7_102:                              ;   in Loop: Header=BB7_103 Depth=3
	s_or_b32 exec_lo, exec_lo, s8
	s_xor_b32 s8, s6, -1
	s_and_b32 s9, exec_lo, s7
	s_delay_alu instid0(SALU_CYCLE_1) | instskip(SKIP_2) | instid1(SALU_CYCLE_1)
	s_or_b32 s1, s9, s1
	s_and_not1_b32 s2, s2, exec_lo
	s_and_b32 s8, s8, exec_lo
	s_or_b32 s2, s2, s8
	s_and_not1_b32 exec_lo, exec_lo, s1
	s_cbranch_execz .LBB7_105
.LBB7_103:                              ;   Parent Loop BB7_15 Depth=1
                                        ;     Parent Loop BB7_93 Depth=2
                                        ; =>    This Inner Loop Header: Depth=3
	v_cmp_ne_u64_e32 vcc_lo, -1, v[4:5]
	s_or_b32 s6, s6, exec_lo
	s_or_b32 s7, s7, exec_lo
                                        ; implicit-def: $vgpr4_vgpr5
	s_and_saveexec_b32 s8, vcc_lo
	s_cbranch_execz .LBB7_102
; %bb.104:                              ;   in Loop: Header=BB7_103 Depth=3
	v_add_co_u32 v2, vcc_lo, v2, 1
	v_readlane_b32 s10, v122, 2
	v_add_co_ci_u32_e32 v3, vcc_lo, 0, v3, vcc_lo
	v_readlane_b32 s11, v122, 3
	v_readlane_b32 s12, v123, 13
	;; [unrolled: 1-line block ×3, first 2 shown]
	s_and_not1_b32 s7, s7, exec_lo
	s_and_not1_b32 s6, s6, exec_lo
	v_cmp_ne_u64_e32 vcc_lo, s[10:11], v[2:3]
	v_readlane_b32 s14, v123, 15
	v_readlane_b32 s15, v123, 16
	v_dual_cndmask_b32 v3, 0, v3 :: v_dual_cndmask_b32 v2, 0, v2
	s_delay_alu instid0(VALU_DEP_1) | instskip(NEXT) | instid1(VALU_DEP_1)
	v_lshlrev_b64 v[4:5], 3, v[2:3]
	v_add_co_u32 v4, vcc_lo, s12, v4
	s_delay_alu instid0(VALU_DEP_2) | instskip(SKIP_4) | instid1(SALU_CYCLE_1)
	v_add_co_ci_u32_e32 v5, vcc_lo, s13, v5, vcc_lo
	global_load_b64 v[4:5], v[4:5], off
	s_waitcnt vmcnt(0)
	v_cmp_eq_u64_e32 vcc_lo, v[4:5], v[0:1]
	s_and_b32 s9, vcc_lo, exec_lo
	s_or_b32 s7, s7, s9
	s_branch .LBB7_102
.LBB7_105:                              ;   in Loop: Header=BB7_93 Depth=2
	s_set_inst_prefetch_distance 0x2
	s_or_b32 exec_lo, exec_lo, s1
	s_mov_b32 s6, -1
	s_or_not1_b32 s1, s2, exec_lo
.LBB7_106:                              ;   in Loop: Header=BB7_93 Depth=2
	s_or_b32 exec_lo, exec_lo, s0
	v_mov_b32_e32 v4, s6
	s_and_saveexec_b32 s0, s1
	s_cbranch_execz .LBB7_108
; %bb.107:                              ;   in Loop: Header=BB7_93 Depth=2
	v_lshlrev_b64 v[0:1], 2, v[2:3]
	v_readlane_b32 s8, v123, 13
	v_readlane_b32 s10, v123, 15
	;; [unrolled: 1-line block ×4, first 2 shown]
	s_delay_alu instid0(VALU_DEP_3) | instskip(NEXT) | instid1(VALU_DEP_3)
	v_add_co_u32 v0, vcc_lo, s10, v0
	v_add_co_ci_u32_e32 v1, vcc_lo, s11, v1, vcc_lo
	global_load_b32 v4, v[0:1], off
.LBB7_108:                              ;   in Loop: Header=BB7_93 Depth=2
	s_or_b32 exec_lo, exec_lo, s0
	s_waitcnt vmcnt(0)
	v_cmp_ne_u32_e32 vcc_lo, v4, v94
	s_mov_b32 s0, exec_lo
	s_mov_b32 s7, -1
	s_xor_b32 s1, exec_lo, -1
	s_or_not1_b32 s8, vcc_lo, exec_lo
.LBB7_109:                              ;   in Loop: Header=BB7_93 Depth=2
	s_or_b32 exec_lo, exec_lo, s71
	v_mov_b32_e32 v78, s7
	s_mov_b32 s2, -1
	s_and_saveexec_b32 s6, s8
	s_cbranch_execz .LBB7_90
; %bb.110:                              ;   in Loop: Header=BB7_93 Depth=2
	v_cmp_ne_u32_e64 s10, -1, v4
	v_mov_b32_e32 v78, s7
	s_mov_b32 s8, s1
	s_mov_b32 s7, s0
	s_mov_b32 s2, exec_lo
	v_cmpx_eq_u32_e32 -1, v4
; %bb.111:                              ;   in Loop: Header=BB7_93 Depth=2
	v_add_nc_u32_e32 v0, 1, v7
	v_cmp_lt_i32_e32 vcc_lo, v7, v77
	v_mov_b32_e32 v78, -1
	s_and_not1_b32 s9, s10, exec_lo
	s_or_b32 s7, s0, exec_lo
	v_mov_b32_e32 v7, v0
	s_and_b32 s10, vcc_lo, exec_lo
	s_and_not1_b32 s8, s1, exec_lo
	s_or_b32 s10, s9, s10
; %bb.112:                              ;   in Loop: Header=BB7_93 Depth=2
	s_or_b32 exec_lo, exec_lo, s2
	s_mov_b32 s2, -1
	s_mov_b32 s11, -1
	s_and_saveexec_b32 s9, s10
	s_cbranch_execz .LBB7_89
; %bb.113:                              ;   in Loop: Header=BB7_93 Depth=2
	v_lshl_add_u32 v0, v10, 2, 0xc10
	v_lshl_add_u32 v1, v9, 2, 0xc10
	;; [unrolled: 1-line block ×3, first 2 shown]
	s_mov_b32 s10, -1
	s_mov_b32 s12, exec_lo
	s_clause 0x1
	scratch_load_b32 v0, v0, off
	scratch_load_b32 v1, v1, off
	s_waitcnt vmcnt(0)
	v_max_i32_e32 v0, v0, v1
	s_delay_alu instid0(VALU_DEP_1)
	v_add_nc_u32_e32 v1, 1, v0
	scratch_store_b32 v2, v1, off
	v_cmpx_gt_i32_e32 0x3b9aca00, v0
	s_cbranch_execz .LBB7_88
; %bb.114:                              ;   in Loop: Header=BB7_93 Depth=2
	v_lshl_add_u32 v0, v8, 2, 0x810
	v_add_nc_u32_e32 v8, 1, v8
	s_xor_b32 s11, exec_lo, -1
	scratch_store_b32 v0, v4, off
	v_cmp_ge_i32_e32 vcc_lo, v8, v6
	s_or_not1_b32 s10, vcc_lo, exec_lo
	s_branch .LBB7_88
.LBB7_115:                              ;   in Loop: Header=BB7_15 Depth=1
	s_or_b32 exec_lo, exec_lo, s38
	v_mov_b32_e32 v0, 0
	s_mov_b32 s11, 0
	s_mov_b32 s0, 0
	s_and_saveexec_b32 s1, s37
	s_delay_alu instid0(SALU_CYCLE_1)
	s_xor_b32 s1, exec_lo, s1
; %bb.116:                              ;   in Loop: Header=BB7_15 Depth=1
	v_mov_b32_e32 v0, v7
	s_mov_b32 s0, exec_lo
	s_and_b32 s11, s36, exec_lo
; %bb.117:                              ;   in Loop: Header=BB7_15 Depth=1
	s_or_b32 exec_lo, exec_lo, s1
	v_readlane_b32 s1, v121, 28
	v_readlane_b32 s2, v111, 4
	v_readlane_b32 s3, v121, 30
	v_readlane_b32 s4, v111, 3
	s_and_b32 s36, s34, exec_lo
	s_and_not1_b32 s1, s1, exec_lo
	s_and_b32 s2, s2, exec_lo
	s_and_not1_b32 s3, s3, exec_lo
	s_or_b32 s15, s1, s2
	v_readlane_b32 s1, v121, 27
	v_readlane_b32 s2, v111, 2
	s_and_b32 s4, s4, exec_lo
	s_and_b32 s34, s31, exec_lo
	s_or_b32 s14, s3, s4
	s_and_not1_b32 s1, s1, exec_lo
	s_and_b32 s2, s2, exec_lo
	v_readlane_b32 s3, v121, 26
	s_or_b32 s13, s1, s2
	v_readlane_b32 s1, v111, 0
	v_readlane_b32 s4, v111, 1
	s_and_b32 s31, s33, exec_lo
	s_and_not1_b32 s3, s3, exec_lo
	v_readlane_b32 s33, v120, 25
	s_and_b32 s6, s1, exec_lo
	v_readlane_b32 s1, v120, 31
	s_and_b32 s4, s4, exec_lo
	s_and_b32 s35, s35, exec_lo
	s_or_b32 s12, s3, s4
	s_and_b32 s10, s29, exec_lo
	s_and_b32 s5, s1, exec_lo
	v_readlane_b32 s1, v120, 30
	s_and_b32 s30, s30, exec_lo
	s_and_b32 s29, s27, exec_lo
	s_and_b32 s9, s28, exec_lo
	s_and_b32 s27, s25, exec_lo
	s_and_b32 s4, s1, exec_lo
	v_readlane_b32 s1, v120, 29
	s_and_b32 s26, s26, exec_lo
	s_and_b32 s25, s23, exec_lo
	s_and_b32 s23, s24, exec_lo
	;; [unrolled: 6-line block ×3, first 2 shown]
	s_and_b32 s19, s17, exec_lo
	s_and_b32 s17, s18, exec_lo
	;; [unrolled: 1-line block ×6, first 2 shown]
	s_or_not1_b32 s11, s11, exec_lo
.LBB7_118:                              ;   in Loop: Header=BB7_15 Depth=1
	s_delay_alu instid0(VALU_DEP_1) | instskip(NEXT) | instid1(VALU_DEP_1)
	v_readlane_b32 s18, v120, 24
	s_or_b32 exec_lo, exec_lo, s18
	s_and_saveexec_b32 s18, s11
	s_cbranch_execz .LBB7_120
; %bb.119:                              ;   in Loop: Header=BB7_15 Depth=1
	v_lshl_add_u32 v1, v6, 2, v63
	v_mov_b32_e32 v78, v0
	s_or_b32 s0, s0, exec_lo
	scratch_load_b32 v76, v1, off
.LBB7_120:                              ;   in Loop: Header=BB7_15 Depth=1
	s_or_b32 exec_lo, exec_lo, s18
	s_delay_alu instid0(SALU_CYCLE_1)
	s_and_b32 s11, s36, exec_lo
	s_and_b32 s10, s10, exec_lo
	v_writelane_b32 v120, s11, 16
	s_and_b32 s11, s35, exec_lo
	s_and_b32 s9, s9, exec_lo
	;; [unrolled: 1-line block ×4, first 2 shown]
	v_writelane_b32 v120, s11, 15
	s_and_b32 s11, s34, exec_lo
	s_and_b32 s7, s7, exec_lo
	v_readlane_b32 s21, v121, 30
	s_and_b32 s28, s2, exec_lo
	v_writelane_b32 v120, s11, 14
	s_and_b32 s11, s31, exec_lo
	s_and_not1_b32 s2, s33, exec_lo
	s_and_b32 s0, s0, exec_lo
	s_and_b32 s24, s29, exec_lo
	v_writelane_b32 v120, s11, 13
	s_and_b32 s11, s16, exec_lo
	s_and_b32 s22, s6, exec_lo
	;; [unrolled: 1-line block ×3, first 2 shown]
	s_or_b32 s33, s2, s0
	v_writelane_b32 v120, s10, 12
	s_and_b32 s10, s30, exec_lo
	s_and_b32 s30, s4, exec_lo
	v_writelane_b32 v120, s10, 11
	s_and_b32 s10, s14, exec_lo
	v_writelane_b32 v120, s9, 10
	s_and_b32 s9, s27, exec_lo
	s_and_b32 s27, s3, exec_lo
	v_writelane_b32 v120, s9, 9
	s_and_b32 s9, s26, exec_lo
	;; [unrolled: 3-line block ×3, first 2 shown]
	s_delay_alu instid0(SALU_CYCLE_1) | instskip(SKIP_1) | instid1(SALU_CYCLE_1)
	v_writelane_b32 v120, s9, 7
	s_and_b32 s9, s23, exec_lo
	v_writelane_b32 v120, s9, 6
	s_and_not1_b32 s9, s21, exec_lo
	v_writelane_b32 v120, s8, 5
	s_and_b32 s8, s15, exec_lo
	v_writelane_b32 v120, s7, 4
	s_and_b32 s7, s20, exec_lo
	s_delay_alu instid0(SALU_CYCLE_1) | instskip(SKIP_1) | instid1(SALU_CYCLE_1)
	v_writelane_b32 v120, s7, 3
	s_and_b32 s7, s19, exec_lo
	v_writelane_b32 v120, s7, 2
	s_and_b32 s7, s17, exec_lo
	s_delay_alu instid0(SALU_CYCLE_1) | instskip(SKIP_1) | instid1(VALU_DEP_1)
	v_writelane_b32 v120, s7, 1
	v_readlane_b32 s7, v121, 28
	s_and_not1_b32 s7, s7, exec_lo
	s_delay_alu instid0(SALU_CYCLE_1)
	s_or_b32 s7, s7, s8
	s_and_b32 s8, s13, exec_lo
	v_writelane_b32 v120, s7, 0
	s_or_b32 s7, s9, s10
	s_and_b32 s10, s12, exec_lo
	v_writelane_b32 v121, s7, 31
	s_delay_alu instid0(VALU_DEP_2) | instskip(NEXT) | instid1(VALU_DEP_2)
	v_readlane_b32 s1, v120, 17
	v_readlane_b32 s7, v121, 27
	;; [unrolled: 1-line block ×3, first 2 shown]
	s_delay_alu instid0(VALU_DEP_2) | instskip(NEXT) | instid1(VALU_DEP_1)
	s_and_not1_b32 s7, s7, exec_lo
	s_and_not1_b32 s9, s9, exec_lo
	s_or_b32 s8, s7, s8
	s_or_b32 s7, s9, s10
.LBB7_121:                              ;   in Loop: Header=BB7_15 Depth=1
	v_writelane_b32 v120, s24, 18
	v_writelane_b32 v120, s18, 19
	;; [unrolled: 1-line block ×5, first 2 shown]
	s_or_b32 exec_lo, exec_lo, s1
	s_mov_b32 s0, -1
	s_mov_b32 s1, exec_lo
	s_delay_alu instid0(SALU_CYCLE_1) | instskip(SKIP_1) | instid1(SALU_CYCLE_1)
	v_writelane_b32 v120, s1, 23
	s_and_b32 s1, s1, s33
	s_mov_b32 exec_lo, s1
	s_cbranch_execz .LBB7_8
; %bb.122:                              ;   in Loop: Header=BB7_15 Depth=1
	s_mov_b32 s1, exec_lo
	v_cmpx_lt_i32_e32 0, v106
	s_cbranch_execz .LBB7_125
; %bb.123:                              ;   in Loop: Header=BB7_15 Depth=1
	v_dual_mov_b32 v1, v72 :: v_dual_add_nc_u32 v0, -1, v106
	v_readlane_b32 s4, v123, 25
	v_readlane_b32 s6, v123, 27
	;; [unrolled: 1-line block ×3, first 2 shown]
	v_add_nc_u32_e32 v2, 1, v106
	v_lshlrev_b64 v[0:1], 2, v[0:1]
	s_mov_b32 s2, 0
	v_readlane_b32 s5, v123, 26
	s_delay_alu instid0(VALU_DEP_2) | instskip(NEXT) | instid1(VALU_DEP_3)
	v_add_co_u32 v0, vcc_lo, v107, v0
	v_add_co_ci_u32_e32 v1, vcc_lo, v108, v1, vcc_lo
	s_delay_alu instid0(VALU_DEP_2) | instskip(NEXT) | instid1(VALU_DEP_2)
	v_add_co_u32 v0, vcc_lo, s6, v0
	v_add_co_ci_u32_e32 v1, vcc_lo, s7, v1, vcc_lo
.LBB7_124:                              ;   Parent Loop BB7_15 Depth=1
                                        ; =>  This Inner Loop Header: Depth=2
	global_load_b32 v3, v[0:1], off
	v_add_nc_u32_e32 v2, -1, v2
	s_delay_alu instid0(VALU_DEP_1)
	v_cmp_gt_u32_e32 vcc_lo, 2, v2
	s_or_b32 s2, vcc_lo, s2
	s_waitcnt vmcnt(0)
	v_not_b32_e32 v3, v3
	global_store_b32 v[0:1], v3, off
	v_add_co_u32 v0, s0, v0, -4
	s_delay_alu instid0(VALU_DEP_1)
	v_add_co_ci_u32_e64 v1, s0, -1, v1, s0
	s_and_not1_b32 exec_lo, exec_lo, s2
	s_cbranch_execnz .LBB7_124
.LBB7_125:                              ;   in Loop: Header=BB7_15 Depth=1
	v_writelane_b32 v111, s30, 5
	v_writelane_b32 v111, s29, 6
	;; [unrolled: 1-line block ×5, first 2 shown]
	s_or_b32 exec_lo, exec_lo, s1
	s_movk_i32 s0, 0x1010
	s_mov_b32 s1, 0
	scratch_load_b32 v0, off, s0
	s_mov_b32 s0, -1
	s_mov_b32 s2, 0
	s_mov_b32 s3, 0
	;; [unrolled: 1-line block ×11, first 2 shown]
	s_mov_b32 s13, -1
	s_mov_b32 s14, 0
	s_mov_b32 s15, 0
	;; [unrolled: 1-line block ×16, first 2 shown]
	v_writelane_b32 v111, s22, 10
	s_waitcnt vmcnt(0)
	v_cmp_lt_i32_e32 vcc_lo, -1, v0
	s_mov_b32 s20, exec_lo
	s_delay_alu instid0(SALU_CYCLE_1) | instskip(SKIP_1) | instid1(SALU_CYCLE_1)
	v_writelane_b32 v111, s20, 11
	s_and_b32 s20, s20, vcc_lo
	s_mov_b32 exec_lo, s20
	s_cbranch_execz .LBB7_7
; %bb.126:                              ;   in Loop: Header=BB7_15 Depth=1
	s_movk_i32 s2, 0x1010
	s_movk_i32 s0, 0x1010
	v_dual_mov_b32 v4, v58 :: v_dual_mov_b32 v7, s2
	v_readlane_b32 s2, v123, 31
	scratch_store_b32 off, v72, s0
	v_readlane_b32 s0, v123, 0
	v_readlane_b32 s1, v123, 1
	v_dual_mov_b32 v0, v59 :: v_dual_mov_b32 v1, v60
	v_dual_mov_b32 v2, v59 :: v_dual_mov_b32 v3, v60
	;; [unrolled: 1-line block ×3, first 2 shown]
	v_mov_b32_e32 v6, v42
	s_add_u32 s8, s0, 0x80
	s_addc_u32 s9, s1, 0
	s_getpc_b64 s[0:1]
	s_add_u32 s0, s0, _ZN3sop13minatoIsopRecEPKjS1_iPNS_3SopEP7VecsMemIjLi8192EE@rel32@lo+4
	s_addc_u32 s1, s1, _ZN3sop13minatoIsopRecEPKjS1_iPNS_3SopEP7VecsMemIjLi8192EE@rel32@hi+12
	s_delay_alu instid0(SALU_CYCLE_1)
	s_swappc_b64 s[30:31], s[0:1]
	s_mov_b32 s0, 0
                                        ; implicit-def: $sgpr53
                                        ; implicit-def: $sgpr56
                                        ; implicit-def: $sgpr1
                                        ; implicit-def: $sgpr3
                                        ; implicit-def: $sgpr2
	s_set_inst_prefetch_distance 0x1
	s_branch .LBB7_128
	.p2align	6
.LBB7_127:                              ;   in Loop: Header=BB7_128 Depth=2
	s_or_b32 exec_lo, exec_lo, s4
	s_delay_alu instid0(SALU_CYCLE_1) | instskip(NEXT) | instid1(SALU_CYCLE_1)
	s_and_b32 s4, exec_lo, s3
	s_or_b32 s0, s4, s0
	s_and_not1_b32 s1, s1, exec_lo
	s_and_b32 s4, s2, exec_lo
	s_and_not1_b32 s7, s56, exec_lo
	s_or_b32 s1, s1, s4
	s_and_b32 s4, s6, exec_lo
	s_and_not1_b32 s6, s53, exec_lo
	s_and_b32 s5, s5, exec_lo
	s_or_b32 s56, s7, s4
	s_or_b32 s53, s6, s5
	s_and_not1_b32 exec_lo, exec_lo, s0
	s_cbranch_execz .LBB7_130
.LBB7_128:                              ;   Parent Loop BB7_15 Depth=1
                                        ; =>  This Inner Loop Header: Depth=2
	s_or_b32 s2, s2, exec_lo
	s_or_b32 s3, s3, exec_lo
	s_mov_b32 s4, exec_lo
                                        ; implicit-def: $sgpr6
                                        ; implicit-def: $sgpr5
	v_cmpx_lt_i32_e32 0, v106
	s_cbranch_execz .LBB7_127
; %bb.129:                              ;   in Loop: Header=BB7_128 Depth=2
	v_dual_mov_b32 v107, v72 :: v_dual_add_nc_u32 v106, -1, v106
	s_and_not1_b32 s3, s3, exec_lo
	s_mov_b32 s6, 0
	s_mov_b32 s5, -1
	s_and_not1_b32 s2, s2, exec_lo
	v_lshlrev_b64 v[2:3], 2, v[106:107]
	s_delay_alu instid0(VALU_DEP_1) | instskip(NEXT) | instid1(VALU_DEP_2)
	v_add_co_u32 v4, vcc_lo, v59, v2
	v_add_co_ci_u32_e32 v5, vcc_lo, v60, v3, vcc_lo
	v_add_co_u32 v2, vcc_lo, v0, v2
	v_add_co_ci_u32_e32 v3, vcc_lo, v1, v3, vcc_lo
	global_load_b32 v4, v[4:5], off
	flat_load_b32 v2, v[2:3]
	s_waitcnt vmcnt(0) lgkmcnt(0)
	v_cmp_ne_u32_e32 vcc_lo, v4, v2
	s_and_b32 s7, vcc_lo, exec_lo
	s_delay_alu instid0(SALU_CYCLE_1)
	s_or_b32 s3, s3, s7
	s_branch .LBB7_127
.LBB7_130:                              ;   in Loop: Header=BB7_15 Depth=1
	s_set_inst_prefetch_distance 0x2
	s_or_b32 exec_lo, exec_lo, s0
	s_mov_b32 s0, -1
	s_mov_b32 s20, s56
	s_mov_b32 s2, s56
	;; [unrolled: 1-line block ×27, first 2 shown]
	s_and_saveexec_b32 s29, s1
	s_delay_alu instid0(SALU_CYCLE_1) | instskip(NEXT) | instid1(SALU_CYCLE_1)
	s_xor_b32 s29, exec_lo, s29
	v_writelane_b32 v111, s29, 12
	s_cbranch_execz .LBB7_6
; %bb.131:                              ;   in Loop: Header=BB7_15 Depth=1
	ds_load_b32 v6, v46 offset:4
	s_mov_b32 s3, 0
	s_mov_b32 s1, 0
	s_mov_b32 s0, exec_lo
	s_waitcnt lgkmcnt(0)
	v_cmpx_lt_i32_e32 0, v6
	s_xor_b32 s2, exec_lo, s0
	s_cbranch_execz .LBB7_135
; %bb.132:                              ;   in Loop: Header=BB7_15 Depth=1
	s_mov_b32 s0, -1
	s_mov_b32 s3, exec_lo
	v_cmpx_eq_u32_e32 1, v6
	s_cbranch_execz .LBB7_134
; %bb.133:                              ;   in Loop: Header=BB7_15 Depth=1
	ds_load_b64 v[0:1], v46 offset:8
	s_waitcnt lgkmcnt(0)
	flat_load_b32 v0, v[0:1]
	s_waitcnt vmcnt(0) lgkmcnt(0)
	v_cmp_eq_u32_e32 vcc_lo, 0, v0
	v_cmp_ne_u32_e64 s0, 0, v0
	s_and_b32 s1, vcc_lo, exec_lo
	s_delay_alu instid0(VALU_DEP_1)
	s_or_not1_b32 s0, s0, exec_lo
.LBB7_134:                              ;   in Loop: Header=BB7_15 Depth=1
	s_or_b32 exec_lo, exec_lo, s3
	s_delay_alu instid0(SALU_CYCLE_1)
	s_and_b32 s1, s1, exec_lo
	s_and_b32 s3, s0, exec_lo
.LBB7_135:                              ;   in Loop: Header=BB7_15 Depth=1
	s_and_not1_saveexec_b32 s0, s2
; %bb.136:                              ;   in Loop: Header=BB7_15 Depth=1
	v_cmp_ne_u32_e32 vcc_lo, 0, v6
	s_and_not1_b32 s2, s3, exec_lo
	s_or_b32 s1, s1, exec_lo
	s_and_b32 s3, vcc_lo, exec_lo
	s_delay_alu instid0(SALU_CYCLE_1)
	s_or_b32 s3, s2, s3
; %bb.137:                              ;   in Loop: Header=BB7_15 Depth=1
	s_or_b32 exec_lo, exec_lo, s0
	v_writelane_b32 v111, s56, 31
                                        ; implicit-def: $vgpr110 : SGPR spill to VGPR lane
	s_mov_b32 s0, 0
	v_writelane_b32 v110, s56, 8
	s_mov_b32 s4, s56
	v_writelane_b32 v111, s56, 30
	v_writelane_b32 v110, s56, 7
	;; [unrolled: 1-line block ×26, first 2 shown]
	s_and_saveexec_b32 s2, s3
	s_cbranch_execz .LBB7_152
; %bb.138:                              ;   in Loop: Header=BB7_15 Depth=1
	v_mov_b32_e32 v0, 0
	v_mov_b32_e32 v1, 0
	s_mov_b32 s9, -1
	s_mov_b32 s3, s56
	s_mov_b32 s4, s56
	;; [unrolled: 1-line block ×3, first 2 shown]
	s_mov_b32 s0, exec_lo
	v_cmpx_lt_i32_e32 0, v6
	s_cbranch_execz .LBB7_142
; %bb.139:                              ;   in Loop: Header=BB7_15 Depth=1
	s_movk_i32 s3, 0x1010
	v_mov_b32_e32 v0, 0
	scratch_load_b32 v3, off, s3
	s_mov_b32 s6, 0
	s_mov_b32 s3, exec_lo
	s_waitcnt vmcnt(0)
	v_dual_mov_b32 v1, 0 :: v_dual_add_nc_u32 v2, v3, v6
	s_delay_alu instid0(VALU_DEP_1)
	v_cmpx_gt_i32_e32 0x2001, v2
	s_cbranch_execz .LBB7_141
; %bb.140:                              ;   in Loop: Header=BB7_15 Depth=1
	v_readlane_b32 s4, v123, 29
	s_mov_b32 s6, exec_lo
	s_delay_alu instid0(VALU_DEP_1)
	v_lshl_add_u32 v0, v3, 2, s4
	s_mov_b64 s[4:5], src_private_base
	s_movk_i32 s4, 0x1010
	v_mov_b32_e32 v1, s5
	scratch_store_b32 off, v2, s4
.LBB7_141:                              ;   in Loop: Header=BB7_15 Depth=1
	s_or_b32 exec_lo, exec_lo, s3
	s_delay_alu instid0(SALU_CYCLE_1)
	s_and_not1_b32 s5, s53, exec_lo
	s_or_b32 s4, s56, exec_lo
	s_and_not1_b32 s3, s56, exec_lo
	s_or_not1_b32 s9, s6, exec_lo
.LBB7_142:                              ;   in Loop: Header=BB7_15 Depth=1
	s_or_b32 exec_lo, exec_lo, s0
	s_mov_b32 s0, 0
	s_mov_b32 s7, s3
	;; [unrolled: 1-line block ×3, first 2 shown]
	s_and_saveexec_b32 s6, s9
	s_cbranch_execz .LBB7_151
; %bb.143:                              ;   in Loop: Header=BB7_15 Depth=1
	s_mov_b32 s8, -1
	s_mov_b32 s9, 0
	s_mov_b32 s7, exec_lo
	v_cmpx_ne_u64_e32 0, v[0:1]
	s_cbranch_execz .LBB7_150
; %bb.144:                              ;   in Loop: Header=BB7_15 Depth=1
	s_mov_b32 s8, exec_lo
	v_cmpx_lt_i32_e32 0, v6
	s_cbranch_execz .LBB7_149
; %bb.145:                              ;   in Loop: Header=BB7_15 Depth=1
	ds_load_b64 v[2:3], v46 offset:8
	v_dual_mov_b32 v5, v1 :: v_dual_mov_b32 v4, v0
	v_mov_b32_e32 v7, v6
.LBB7_146:                              ;   Parent Loop BB7_15 Depth=1
                                        ; =>  This Inner Loop Header: Depth=2
	s_waitcnt lgkmcnt(0)
	flat_load_b32 v8, v[2:3]
	v_add_nc_u32_e32 v7, -1, v7
	v_add_co_u32 v2, vcc_lo, v2, 4
	v_add_co_ci_u32_e32 v3, vcc_lo, 0, v3, vcc_lo
	s_delay_alu instid0(VALU_DEP_3) | instskip(SKIP_4) | instid1(VALU_DEP_1)
	v_cmp_eq_u32_e32 vcc_lo, 0, v7
	s_or_b32 s9, vcc_lo, s9
	s_waitcnt vmcnt(0) lgkmcnt(0)
	flat_store_b32 v[4:5], v8
	v_add_co_u32 v4, s0, v4, 4
	v_add_co_ci_u32_e64 v5, s0, 0, v5, s0
	s_and_not1_b32 exec_lo, exec_lo, s9
	s_cbranch_execnz .LBB7_146
; %bb.147:                              ;   in Loop: Header=BB7_15 Depth=1
	s_or_b32 exec_lo, exec_lo, s9
	v_mov_b32_e32 v2, v6
	v_readlane_b32 s10, v123, 29
	s_mov_b32 s9, 0
.LBB7_148:                              ;   Parent Loop BB7_15 Depth=1
                                        ; =>  This Inner Loop Header: Depth=2
	flat_load_b32 v3, v[0:1]
	v_add_nc_u32_e32 v2, -1, v2
	v_add_co_u32 v0, vcc_lo, v0, 4
	v_add_co_ci_u32_e32 v1, vcc_lo, 0, v1, vcc_lo
	s_delay_alu instid0(VALU_DEP_3) | instskip(SKIP_4) | instid1(SALU_CYCLE_1)
	v_cmp_eq_u32_e64 s0, 0, v2
	s_waitcnt vmcnt(0) lgkmcnt(0)
	scratch_store_b32 off, v3, s10
	s_add_i32 s10, s10, 4
	s_or_b32 s9, s0, s9
	s_and_not1_b32 exec_lo, exec_lo, s9
	s_cbranch_execnz .LBB7_148
.LBB7_149:                              ;   in Loop: Header=BB7_15 Depth=1
	s_or_b32 exec_lo, exec_lo, s8
	s_movk_i32 s0, 0x1010
	s_mov_b32 s9, exec_lo
	scratch_load_b32 v0, off, s0
	s_xor_b32 s8, exec_lo, -1
	s_waitcnt vmcnt(0)
	v_cmp_ge_i32_e32 vcc_lo, v0, v6
	s_and_b32 s0, vcc_lo, exec_lo
.LBB7_150:                              ;   in Loop: Header=BB7_15 Depth=1
	s_or_b32 exec_lo, exec_lo, s7
	s_delay_alu instid0(SALU_CYCLE_1)
	s_and_not1_b32 s3, s3, exec_lo
	s_and_b32 s7, s9, exec_lo
	s_and_b32 s9, s8, exec_lo
	s_and_not1_b32 s5, s5, exec_lo
	s_or_b32 s8, s3, s7
	s_or_b32 s7, s3, s9
	s_and_not1_b32 s4, s4, exec_lo
	s_and_b32 s0, s0, exec_lo
.LBB7_151:                              ;   in Loop: Header=BB7_15 Depth=1
	s_or_b32 exec_lo, exec_lo, s6
	s_delay_alu instid0(SALU_CYCLE_1)
	s_and_not1_b32 s6, s53, exec_lo
	s_and_b32 s5, s5, exec_lo
	s_and_b32 s9, s3, exec_lo
	s_or_b32 s5, s6, s5
	s_and_b32 s6, s3, exec_lo
	v_writelane_b32 v111, s5, 13
	s_and_not1_b32 s5, s56, exec_lo
	s_and_b32 s7, s7, exec_lo
	s_or_b32 s6, s5, s6
	s_and_b32 s4, s4, exec_lo
	v_writelane_b32 v111, s6, 14
	s_or_b32 s6, s5, s9
	s_and_b32 s9, s3, exec_lo
	s_or_b32 s4, s5, s4
	s_and_b32 s0, s0, exec_lo
	v_writelane_b32 v111, s6, 15
	s_and_b32 s6, s3, exec_lo
	s_and_not1_b32 s1, s1, exec_lo
	s_or_b32 s6, s5, s6
	s_delay_alu instid0(SALU_CYCLE_1) | instskip(SKIP_4) | instid1(SALU_CYCLE_1)
	v_writelane_b32 v111, s6, 16
	s_or_b32 s6, s5, s9
	s_and_b32 s9, s3, exec_lo
	v_writelane_b32 v111, s6, 17
	s_and_b32 s6, s3, exec_lo
	s_or_b32 s6, s5, s6
	s_delay_alu instid0(SALU_CYCLE_1) | instskip(SKIP_4) | instid1(SALU_CYCLE_1)
	v_writelane_b32 v111, s6, 18
	s_or_b32 s6, s5, s9
	s_and_b32 s9, s3, exec_lo
	v_writelane_b32 v111, s6, 19
	s_and_b32 s6, s3, exec_lo
	;; [unrolled: 7-line block ×4, first 2 shown]
	s_or_b32 s6, s5, s6
	s_delay_alu instid0(SALU_CYCLE_1) | instskip(SKIP_1) | instid1(SALU_CYCLE_1)
	v_writelane_b32 v111, s6, 24
	s_or_b32 s6, s5, s9
	v_writelane_b32 v111, s6, 25
	s_and_b32 s6, s8, exec_lo
	s_delay_alu instid0(SALU_CYCLE_1) | instskip(NEXT) | instid1(SALU_CYCLE_1)
	s_or_b32 s6, s5, s6
	v_writelane_b32 v111, s6, 26
	s_or_b32 s6, s5, s7
	s_delay_alu instid0(SALU_CYCLE_1)
	v_writelane_b32 v111, s6, 27
	s_and_b32 s6, s3, exec_lo
	v_writelane_b32 v111, s4, 28
	s_or_b32 s4, s5, s6
	s_and_b32 s6, s3, exec_lo
	v_writelane_b32 v111, s4, 29
	s_and_b32 s4, s3, exec_lo
	s_delay_alu instid0(SALU_CYCLE_1) | instskip(NEXT) | instid1(SALU_CYCLE_1)
	s_or_b32 s4, s5, s4
	v_writelane_b32 v111, s4, 30
	s_or_b32 s4, s5, s6
	s_and_b32 s6, s3, exec_lo
	v_writelane_b32 v111, s4, 31
	s_and_b32 s4, s3, exec_lo
	s_delay_alu instid0(SALU_CYCLE_1) | instskip(NEXT) | instid1(SALU_CYCLE_1)
	s_or_b32 s4, s5, s4
	;; [unrolled: 7-line block ×5, first 2 shown]
	v_writelane_b32 v110, s4, 6
	s_or_b32 s4, s5, s6
	s_delay_alu instid0(SALU_CYCLE_1) | instskip(SKIP_3) | instid1(SALU_CYCLE_1)
	v_writelane_b32 v110, s4, 7
	s_and_b32 s4, s3, exec_lo
	s_and_b32 s3, s3, exec_lo
	s_or_b32 s4, s5, s4
	v_writelane_b32 v110, s4, 8
	s_or_b32 s4, s5, s3
.LBB7_152:                              ;   in Loop: Header=BB7_15 Depth=1
	s_or_b32 exec_lo, exec_lo, s2
	s_and_saveexec_b32 s2, s1
	s_cbranch_execz .LBB7_154
; %bb.153:                              ;   in Loop: Header=BB7_15 Depth=1
	s_movk_i32 s1, 0x1010
	s_and_not1_b32 s0, s0, exec_lo
	scratch_load_b32 v0, off, s1
	v_readlane_b32 s1, v111, 13
	s_and_not1_b32 s4, s4, exec_lo
	s_delay_alu instid0(VALU_DEP_1) | instskip(NEXT) | instid1(SALU_CYCLE_1)
	s_and_not1_b32 s1, s1, exec_lo
	v_writelane_b32 v111, s1, 13
	s_delay_alu instid0(VALU_DEP_1) | instskip(NEXT) | instid1(VALU_DEP_1)
	v_readlane_b32 s1, v111, 14
	s_and_not1_b32 s1, s1, exec_lo
	s_delay_alu instid0(SALU_CYCLE_1) | instskip(NEXT) | instid1(VALU_DEP_1)
	v_writelane_b32 v111, s1, 14
	v_readlane_b32 s1, v111, 15
	s_delay_alu instid0(VALU_DEP_1) | instskip(NEXT) | instid1(SALU_CYCLE_1)
	s_and_not1_b32 s1, s1, exec_lo
	v_writelane_b32 v111, s1, 15
	s_delay_alu instid0(VALU_DEP_1) | instskip(NEXT) | instid1(VALU_DEP_1)
	v_readlane_b32 s1, v111, 16
	s_and_not1_b32 s1, s1, exec_lo
	s_delay_alu instid0(SALU_CYCLE_1) | instskip(NEXT) | instid1(VALU_DEP_1)
	v_writelane_b32 v111, s1, 16
	v_readlane_b32 s1, v111, 17
	;; [unrolled: 9-line block ×6, first 2 shown]
	s_delay_alu instid0(VALU_DEP_1) | instskip(NEXT) | instid1(SALU_CYCLE_1)
	s_or_b32 s1, s1, exec_lo
	v_writelane_b32 v111, s1, 25
	s_delay_alu instid0(VALU_DEP_1) | instskip(NEXT) | instid1(VALU_DEP_1)
	v_readlane_b32 s1, v111, 26
	s_and_not1_b32 s1, s1, exec_lo
	s_delay_alu instid0(SALU_CYCLE_1) | instskip(NEXT) | instid1(VALU_DEP_1)
	v_writelane_b32 v111, s1, 26
	v_readlane_b32 s1, v111, 27
	s_delay_alu instid0(VALU_DEP_1) | instskip(NEXT) | instid1(SALU_CYCLE_1)
	s_and_not1_b32 s1, s1, exec_lo
	v_writelane_b32 v111, s1, 27
	s_delay_alu instid0(VALU_DEP_1) | instskip(NEXT) | instid1(VALU_DEP_1)
	v_readlane_b32 s1, v111, 28
	s_and_not1_b32 s1, s1, exec_lo
	s_delay_alu instid0(SALU_CYCLE_1) | instskip(NEXT) | instid1(VALU_DEP_1)
	v_writelane_b32 v111, s1, 28
	v_readlane_b32 s1, v111, 29
	s_delay_alu instid0(VALU_DEP_1) | instskip(NEXT) | instid1(SALU_CYCLE_1)
	s_and_not1_b32 s1, s1, exec_lo
	;; [unrolled: 9-line block ×3, first 2 shown]
	v_writelane_b32 v111, s1, 31
	v_readlane_b32 s1, v110, 0
	s_delay_alu instid0(VALU_DEP_1) | instskip(NEXT) | instid1(SALU_CYCLE_1)
	s_and_not1_b32 s1, s1, exec_lo
	v_writelane_b32 v110, s1, 0
	s_delay_alu instid0(VALU_DEP_1) | instskip(NEXT) | instid1(VALU_DEP_1)
	v_readlane_b32 s1, v110, 1
	s_and_not1_b32 s1, s1, exec_lo
	s_delay_alu instid0(SALU_CYCLE_1) | instskip(NEXT) | instid1(VALU_DEP_1)
	v_writelane_b32 v110, s1, 1
	v_readlane_b32 s1, v110, 2
	s_delay_alu instid0(VALU_DEP_1) | instskip(NEXT) | instid1(SALU_CYCLE_1)
	s_and_not1_b32 s1, s1, exec_lo
	v_writelane_b32 v110, s1, 2
	s_delay_alu instid0(VALU_DEP_1) | instskip(NEXT) | instid1(VALU_DEP_1)
	v_readlane_b32 s1, v110, 3
	s_and_not1_b32 s1, s1, exec_lo
	s_delay_alu instid0(SALU_CYCLE_1) | instskip(NEXT) | instid1(VALU_DEP_1)
	;; [unrolled: 9-line block ×3, first 2 shown]
	v_writelane_b32 v110, s1, 5
	v_readlane_b32 s1, v110, 6
	s_delay_alu instid0(VALU_DEP_1) | instskip(NEXT) | instid1(SALU_CYCLE_1)
	s_and_not1_b32 s1, s1, exec_lo
	v_writelane_b32 v110, s1, 6
	s_delay_alu instid0(VALU_DEP_1) | instskip(NEXT) | instid1(VALU_DEP_1)
	v_readlane_b32 s1, v110, 7
	s_and_not1_b32 s1, s1, exec_lo
	s_delay_alu instid0(SALU_CYCLE_1) | instskip(SKIP_2) | instid1(VALU_DEP_2)
	v_writelane_b32 v110, s1, 7
	s_waitcnt vmcnt(0)
	v_cmp_ge_i32_e32 vcc_lo, v0, v6
	v_readlane_b32 s1, v110, 8
	s_delay_alu instid0(VALU_DEP_1) | instskip(NEXT) | instid1(SALU_CYCLE_1)
	s_and_not1_b32 s1, s1, exec_lo
	v_writelane_b32 v110, s1, 8
	s_and_b32 s1, vcc_lo, exec_lo
	s_delay_alu instid0(SALU_CYCLE_1)
	s_or_b32 s0, s0, s1
	s_movk_i32 s1, 0x1010
	scratch_store_b32 off, v72, s1 offset:4
.LBB7_154:                              ;   in Loop: Header=BB7_15 Depth=1
	s_or_b32 exec_lo, exec_lo, s2
	s_mov_b32 s1, -1
	s_mov_b32 s2, exec_lo
	s_delay_alu instid0(SALU_CYCLE_1)
	s_and_b32 s0, s2, s0
	v_writelane_b32 v110, s2, 9
	s_mov_b32 exec_lo, s0
	s_cbranch_execz .LBB7_5
; %bb.155:                              ;   in Loop: Header=BB7_15 Depth=1
	s_movk_i32 s0, 0x1010
	s_mov_b32 s57, 0
	scratch_store_b32 off, v6, s0
	s_mov_b32 s0, 0x9018
	s_mov_b32 s58, 0
	scratch_store_b32 off, v58, s0 offset:2056
	s_mov_b32 s0, 0
	s_mov_b32 s1, exec_lo
                                        ; implicit-def: $vgpr9
	v_cmpx_lt_i32_e32 0, v6
	s_xor_b32 s1, exec_lo, s1
	v_writelane_b32 v110, s4, 10
	s_cbranch_execz .LBB7_161
; %bb.156:                              ;   in Loop: Header=BB7_15 Depth=1
	s_mov_b32 s0, -1
	s_mov_b32 s3, 0
	s_mov_b32 s2, exec_lo
	v_cmpx_eq_u32_e32 1, v6
	s_cbranch_execz .LBB7_160
; %bb.157:                              ;   in Loop: Header=BB7_15 Depth=1
	s_movk_i32 s0, 0x1010
	scratch_load_b32 v0, off, s0 offset:4
	s_waitcnt vmcnt(0)
	v_cmp_ne_u32_e32 vcc_lo, 0, v0
	v_cmp_eq_u32_e64 s0, 0, v0
	s_delay_alu instid0(VALU_DEP_1) | instskip(NEXT) | instid1(SALU_CYCLE_1)
	s_and_saveexec_b32 s4, s0
	s_xor_b32 s0, exec_lo, s4
; %bb.158:                              ;   in Loop: Header=BB7_15 Depth=1
	v_lshl_add_u32 v0, v58, 3, v62
	s_mov_b32 s3, exec_lo
	s_mov_b32 s4, 0x9018
	s_clause 0x1
	scratch_store_b32 off, v89, s4 offset:2056
	scratch_store_b64 v0, v[90:91], off
; %bb.159:                              ;   in Loop: Header=BB7_15 Depth=1
	s_or_b32 exec_lo, exec_lo, s0
	s_delay_alu instid0(SALU_CYCLE_1)
	s_and_b32 s3, s3, exec_lo
	s_or_not1_b32 s0, vcc_lo, exec_lo
.LBB7_160:                              ;   in Loop: Header=BB7_15 Depth=1
	s_or_b32 exec_lo, exec_lo, s2
	v_mov_b32_e32 v9, v89
	v_readlane_b32 s4, v110, 10
	s_and_b32 s58, s3, exec_lo
	s_and_b32 s0, s0, exec_lo
.LBB7_161:                              ;   in Loop: Header=BB7_15 Depth=1
	s_and_not1_saveexec_b32 s1, s1
; %bb.162:                              ;   in Loop: Header=BB7_15 Depth=1
	v_cmp_ne_u32_e32 vcc_lo, 0, v6
	s_and_not1_b32 s0, s0, exec_lo
	s_mov_b32 s57, exec_lo
                                        ; implicit-def: $vgpr9
	s_and_b32 s2, vcc_lo, exec_lo
	s_delay_alu instid0(SALU_CYCLE_1)
	s_or_b32 s0, s0, s2
; %bb.163:                              ;   in Loop: Header=BB7_15 Depth=1
	s_or_b32 exec_lo, exec_lo, s1
	v_readlane_b32 s1, v111, 15
	v_readlane_b32 s40, v110, 8
	;; [unrolled: 1-line block ×10, first 2 shown]
	v_writelane_b32 v110, s1, 11
	v_readlane_b32 s1, v111, 14
	s_mov_b32 s2, 3
	s_mov_b32 s3, 1
	s_delay_alu instid0(SALU_CYCLE_1)
	v_dual_mov_b32 v1, s2 :: v_dual_mov_b32 v2, s3
	v_readlane_b32 s45, v111, 31
	v_readlane_b32 s44, v111, 30
	;; [unrolled: 1-line block ×10, first 2 shown]
	v_readlane_b32 vcc_hi, v111, 21
	v_readlane_b32 s55, v111, 20
	v_readlane_b32 s26, v111, 19
	;; [unrolled: 1-line block ×5, first 2 shown]
	v_writelane_b32 v110, s1, 12
	v_readlane_b32 s1, v111, 13
	s_mov_b32 s5, s4
	s_delay_alu instid0(VALU_DEP_1)
	v_writelane_b32 v110, s1, 13
	s_and_saveexec_b32 s59, s0
	s_cbranch_execz .LBB7_185
; %bb.164:                              ;   in Loop: Header=BB7_15 Depth=1
	v_mov_b32_e32 v3, 0
	v_cmp_lt_i32_e32 vcc_lo, 0, v6
	v_mov_b32_e32 v4, 0
	v_readlane_b32 s74, v110, 8
	v_readlane_b32 s87, v110, 7
	;; [unrolled: 1-line block ×28, first 2 shown]
	s_mov_b32 s1, -1
	s_mov_b32 s73, s4
	ds_store_b32 v57, v72 offset:4
	s_and_saveexec_b32 s0, vcc_lo
	s_cbranch_execz .LBB7_168
; %bb.165:                              ;   in Loop: Header=BB7_15 Depth=1
	v_mov_b32_e32 v3, 0
	v_mov_b32_e32 v4, 0
	s_mov_b32 s1, 0
	s_mov_b32 s2, exec_lo
	v_cmpx_gt_u32_e32 0x1001, v6
	s_cbranch_execz .LBB7_167
; %bb.166:                              ;   in Loop: Header=BB7_15 Depth=1
	v_lshl_add_u32 v0, v6, 3, 0x1010
	s_mov_b64 s[4:5], src_private_base
	s_delay_alu instid0(SALU_CYCLE_1) | instskip(SKIP_3) | instid1(VALU_DEP_2)
	v_dual_mov_b32 v4, s5 :: v_dual_lshlrev_b32 v1, 2, v6
	v_readlane_b32 s4, v110, 10
	s_mov_b32 s1, exec_lo
	s_movk_i32 s3, 0x1010
	v_sub_nc_u32_e32 v0, v0, v1
	v_lshlrev_b32_e32 v1, 1, v6
	s_delay_alu instid0(VALU_DEP_2)
	v_add_nc_u32_e32 v3, 4, v0
	scratch_store_b32 off, v1, s3
.LBB7_167:                              ;   in Loop: Header=BB7_15 Depth=1
	s_or_b32 exec_lo, exec_lo, s2
	v_readlane_b32 s2, v111, 13
	s_and_not1_b32 s73, s4, exec_lo
	s_or_not1_b32 s1, s1, exec_lo
	s_delay_alu instid0(VALU_DEP_1) | instskip(SKIP_1) | instid1(VALU_DEP_1)
	s_and_not1_b32 s66, s2, exec_lo
	v_readlane_b32 s2, v111, 14
	s_and_not1_b32 s65, s2, exec_lo
	v_readlane_b32 s2, v111, 15
	s_delay_alu instid0(VALU_DEP_1) | instskip(SKIP_1) | instid1(VALU_DEP_1)
	s_and_not1_b32 s36, s2, exec_lo
	v_readlane_b32 s2, v111, 16
	s_and_not1_b32 s64, s2, exec_lo
	v_readlane_b32 s2, v111, 17
	;; [unrolled: 5-line block ×5, first 2 shown]
	s_delay_alu instid0(VALU_DEP_1) | instskip(SKIP_1) | instid1(VALU_DEP_1)
	s_and_not1_b32 s69, s2, exec_lo
	v_readlane_b32 s2, v111, 24
	s_or_b32 s68, s2, exec_lo
	v_readlane_b32 s2, v111, 25
	s_delay_alu instid0(VALU_DEP_1) | instskip(SKIP_1) | instid1(VALU_DEP_1)
	s_and_not1_b32 s72, s2, exec_lo
	v_readlane_b32 s2, v111, 26
	s_and_not1_b32 s67, s2, exec_lo
	v_readlane_b32 s2, v111, 27
	s_delay_alu instid0(VALU_DEP_1) | instskip(SKIP_1) | instid1(VALU_DEP_1)
	s_and_not1_b32 s104, s2, exec_lo
	v_readlane_b32 s2, v111, 28
	s_and_not1_b32 s103, s2, exec_lo
	;; [unrolled: 5-line block ×8, first 2 shown]
.LBB7_168:                              ;   in Loop: Header=BB7_15 Depth=1
	s_or_b32 exec_lo, exec_lo, s0
	s_mov_b32 s0, s58
                                        ; implicit-def: $vgpr9
                                        ; implicit-def: $vgpr1_vgpr2
	s_and_saveexec_b32 s2, s1
	s_cbranch_execz .LBB7_184
; %bb.169:                              ;   in Loop: Header=BB7_15 Depth=1
	s_mov_b32 s1, exec_lo
	v_writelane_b32 v110, s2, 14
	ds_store_b64 v57, v[3:4] offset:8
	v_cmpx_lt_i32_e32 0, v6
	s_cbranch_execz .LBB7_173
; %bb.170:                              ;   in Loop: Header=BB7_15 Depth=1
	v_mov_b32_e32 v0, v6
	v_readlane_b32 s3, v123, 29
	s_mov_b32 s2, 0
.LBB7_171:                              ;   Parent Loop BB7_15 Depth=1
                                        ; =>  This Inner Loop Header: Depth=2
	scratch_load_b32 v1, off, s3
	v_add_nc_u32_e32 v0, -1, v0
	s_add_i32 s3, s3, 4
	s_delay_alu instid0(VALU_DEP_1) | instskip(SKIP_3) | instid1(VALU_DEP_1)
	v_cmp_eq_u32_e32 vcc_lo, 0, v0
	s_or_b32 s2, vcc_lo, s2
	s_waitcnt vmcnt(0)
	v_lshrrev_b32_e32 v2, 1, v1
	v_or_b32_e32 v2, v2, v1
	s_delay_alu instid0(VALU_DEP_1) | instskip(NEXT) | instid1(VALU_DEP_1)
	v_and_b32_e32 v2, 0x55555555, v2
	v_lshl_add_u32 v2, v2, 1, v2
	s_delay_alu instid0(VALU_DEP_1) | instskip(SKIP_2) | instid1(VALU_DEP_1)
	v_xor_b32_e32 v1, v2, v1
	flat_store_b32 v[3:4], v1
	v_add_co_u32 v3, s0, v3, 4
	v_add_co_ci_u32_e64 v4, s0, 0, v4, s0
	s_and_not1_b32 exec_lo, exec_lo, s2
	s_cbranch_execnz .LBB7_171
; %bb.172:                              ;   in Loop: Header=BB7_15 Depth=1
	s_or_b32 exec_lo, exec_lo, s2
	ds_store_b32 v57, v6 offset:4
.LBB7_173:                              ;   in Loop: Header=BB7_15 Depth=1
	v_writelane_b32 v110, s57, 15
	s_or_b32 exec_lo, exec_lo, s1
	s_movk_i32 s2, 0x1010
	s_delay_alu instid0(SALU_CYCLE_1) | instskip(SKIP_4) | instid1(VALU_DEP_4)
	v_dual_mov_b32 v0, v57 :: v_dual_mov_b32 v3, s2
	v_readlane_b32 s2, v123, 31
	v_readlane_b32 s0, v123, 0
	;; [unrolled: 1-line block ×3, first 2 shown]
	v_dual_mov_b32 v1, v45 :: v_dual_lshlrev_b32 v2, 1, v58
	v_mov_b32_e32 v4, s2
	s_mov_b32 s2, 0x9820
	s_add_u32 s8, s0, 0x80
	v_mov_b32_e32 v5, s2
	s_mov_b64 s[2:3], src_private_base
	s_addc_u32 s9, s1, 0
	v_mov_b32_e32 v6, s3
	s_mov_b32 s57, s59
	s_mov_b32 s59, s66
	;; [unrolled: 1-line block ×5, first 2 shown]
	s_getpc_b64 s[0:1]
	s_add_u32 s0, s0, _ZN3sop12sopFactorRecEPNS_3SopEiP7VecsMemIjLi8192EEPN8subgUtil4SubgILi256EEE@rel32@lo+4
	s_addc_u32 s1, s1, _ZN3sop12sopFactorRecEPNS_3SopEiP7VecsMemIjLi8192EEPN8subgUtil4SubgILi256EEE@rel32@hi+12
	s_delay_alu instid0(SALU_CYCLE_1)
	s_swappc_b64 s[30:31], s[0:1]
	s_mov_b32 s0, 0x9018
	v_ashrrev_i32_e32 v3, 1, v0
	scratch_load_b32 v9, off, s0 offset:2056
	s_mov_b32 s15, s58
	s_mov_b32 s1, s73
	;; [unrolled: 1-line block ×3, first 2 shown]
	v_cmp_ge_i32_e32 vcc_lo, v3, v58
	s_mov_b32 s2, s87
	s_mov_b32 s3, s92
	;; [unrolled: 1-line block ×39, first 2 shown]
                                        ; implicit-def: $vgpr1_vgpr2
	s_and_saveexec_b32 s30, vcc_lo
	s_mov_b32 s59, s57
	v_readlane_b32 s57, v110, 15
	s_xor_b32 s30, exec_lo, s30
	s_cbranch_execz .LBB7_177
; %bb.174:                              ;   in Loop: Header=BB7_15 Depth=1
	s_waitcnt vmcnt(0)
	v_lshl_add_u32 v0, v9, 3, 0x9820
	s_mov_b32 s1, s58
	scratch_load_b64 v[1:2], v0, off
	s_waitcnt vmcnt(0)
	v_lshrrev_b32_e32 v3, 1, v1
	v_cmp_lt_i64_e32 vcc_lo, -1, v[1:2]
	s_delay_alu instid0(VALU_DEP_2) | instskip(NEXT) | instid1(VALU_DEP_1)
	v_cmp_ge_i32_e64 s0, v3, v2
	s_and_b32 s0, vcc_lo, s0
	s_delay_alu instid0(SALU_CYCLE_1) | instskip(NEXT) | instid1(SALU_CYCLE_1)
	s_and_saveexec_b32 s2, s0
	s_xor_b32 s0, exec_lo, s2
	s_cbranch_execz .LBB7_176
; %bb.175:                              ;   in Loop: Header=BB7_15 Depth=1
	v_xor_b32_e32 v1, 1, v1
	s_or_b32 s1, s58, exec_lo
	scratch_store_b64 v0, v[1:2], off
.LBB7_176:                              ;   in Loop: Header=BB7_15 Depth=1
	s_or_b32 exec_lo, exec_lo, s0
	s_delay_alu instid0(SALU_CYCLE_1)
	s_and_not1_b32 s15, s58, exec_lo
	s_and_b32 s31, s1, exec_lo
	s_and_not1_b32 s29, s66, exec_lo
	s_and_not1_b32 s28, s65, exec_lo
	;; [unrolled: 1-line block ×10, first 2 shown]
	s_or_b32 s19, s67, exec_lo
	s_and_not1_b32 s18, s55, exec_lo
	s_and_not1_b32 s17, s37, exec_lo
	;; [unrolled: 1-line block ×18, first 2 shown]
	s_or_b32 s15, s15, s31
                                        ; implicit-def: $vgpr3
                                        ; implicit-def: $vgpr0
.LBB7_177:                              ;   in Loop: Header=BB7_15 Depth=1
	s_and_not1_saveexec_b32 s30, s30
	s_cbranch_execz .LBB7_183
; %bb.178:                              ;   in Loop: Header=BB7_15 Depth=1
	s_mov_b32 s35, -1
	s_mov_b32 s34, 0
	s_mov_b32 s31, s15
	s_mov_b32 s33, exec_lo
                                        ; implicit-def: $vgpr1_vgpr2
	s_waitcnt vmcnt(0)
	v_cmpx_eq_u32_e64 v9, v58
	s_cbranch_execz .LBB7_182
; %bb.179:                              ;   in Loop: Header=BB7_15 Depth=1
	v_ashrrev_i32_e32 v4, 31, v3
	s_mov_b32 s31, s15
	s_mov_b32 s34, exec_lo
	s_delay_alu instid0(VALU_DEP_1) | instskip(NEXT) | instid1(VALU_DEP_1)
	v_lshlrev_b64 v[1:2], 2, v[3:4]
	v_add_co_u32 v1, vcc_lo, v104, v1
	s_delay_alu instid0(VALU_DEP_2) | instskip(SKIP_3) | instid1(VALU_DEP_1)
	v_add_co_ci_u32_e32 v2, vcc_lo, v105, v2, vcc_lo
	global_load_b32 v1, v[1:2], off
	s_waitcnt vmcnt(0)
	v_lshlrev_b32_e32 v3, 1, v1
                                        ; implicit-def: $vgpr1_vgpr2
	v_cmpx_lt_i32_e32 -1, v3
	s_xor_b32 s34, exec_lo, s34
; %bb.180:                              ;   in Loop: Header=BB7_15 Depth=1
	v_not_b32_e32 v0, v0
	s_mov_b32 s35, 0x9018
	s_or_b32 s31, s15, exec_lo
	s_delay_alu instid0(VALU_DEP_1) | instskip(NEXT) | instid1(VALU_DEP_1)
	v_and_b32_e32 v0, 1, v0
	v_or_b32_e32 v2, v3, v0
	s_delay_alu instid0(VALU_DEP_1)
	v_lshl_or_b32 v1, v2, 1, v0
	v_lshl_add_u32 v0, v58, 3, v62
	s_clause 0x1
	scratch_store_b32 off, v89, s35 offset:2056
	scratch_store_b64 v0, v[1:2], off
; %bb.181:                              ;   in Loop: Header=BB7_15 Depth=1
	s_or_b32 exec_lo, exec_lo, s34
	s_delay_alu instid0(SALU_CYCLE_1)
	s_and_not1_b32 s36, s15, exec_lo
	s_and_b32 s31, s31, exec_lo
	s_mov_b32 s34, exec_lo
	s_xor_b32 s35, exec_lo, -1
	s_or_b32 s31, s36, s31
.LBB7_182:                              ;   in Loop: Header=BB7_15 Depth=1
	s_or_b32 exec_lo, exec_lo, s33
	s_delay_alu instid0(SALU_CYCLE_1)
	s_and_not1_b32 s23, s23, exec_lo
	s_and_b32 s33, s34, exec_lo
	s_and_not1_b32 s20, s20, exec_lo
	s_and_b32 s34, s35, exec_lo
	;; [unrolled: 2-line block ×3, first 2 shown]
	s_and_not1_b32 s29, s29, exec_lo
	s_and_not1_b32 s28, s28, exec_lo
	;; [unrolled: 1-line block ×8, first 2 shown]
	s_or_b32 s23, s23, s33
	s_or_b32 s20, s20, s34
	s_and_not1_b32 s19, s19, exec_lo
	s_and_not1_b32 s18, s18, exec_lo
	;; [unrolled: 1-line block ×18, first 2 shown]
	v_mov_b32_e32 v9, v89
	s_and_not1_b32 s1, s1, exec_lo
	s_or_b32 s15, s15, s31
.LBB7_183:                              ;   in Loop: Header=BB7_15 Depth=1
	s_or_b32 exec_lo, exec_lo, s30
	s_delay_alu instid0(SALU_CYCLE_1)
	s_and_not1_b32 s30, s66, exec_lo
	s_and_b32 s29, s29, exec_lo
	s_and_not1_b32 s31, s65, exec_lo
	s_and_b32 s28, s28, exec_lo
	s_or_b32 s66, s30, s29
	s_or_b32 s65, s31, s28
	s_and_not1_b32 s28, s64, exec_lo
	s_and_b32 s27, s27, exec_lo
	s_and_not1_b32 s29, s61, exec_lo
	s_and_b32 s26, s26, exec_lo
	s_or_b32 s36, s28, s27
	s_or_b32 s64, s29, s26
	;; [unrolled: 6-line block ×15, first 2 shown]
	v_readlane_b32 s2, v110, 14
.LBB7_184:                              ;   in Loop: Header=BB7_15 Depth=1
	s_delay_alu instid0(VALU_DEP_1)
	s_or_b32 exec_lo, exec_lo, s2
	v_readlane_b32 s1, v111, 13
	s_and_b32 s2, s66, exec_lo
	v_readlane_b32 s3, v111, 14
	s_and_b32 s4, s65, exec_lo
	s_and_b32 s0, s0, exec_lo
	s_and_not1_b32 s1, s1, exec_lo
	s_and_not1_b32 s57, s57, exec_lo
	s_or_b32 s1, s1, s2
	s_and_not1_b32 s3, s3, exec_lo
	v_writelane_b32 v110, s1, 13
	s_or_b32 s1, s3, s4
	s_and_b32 s2, s36, exec_lo
	v_readlane_b32 s3, v111, 16
	s_and_b32 s4, s64, exec_lo
	v_writelane_b32 v110, s1, 12
	v_readlane_b32 s1, v111, 15
	s_delay_alu instid0(VALU_DEP_3) | instskip(NEXT) | instid1(SALU_CYCLE_1)
	s_and_not1_b32 s3, s3, exec_lo
	s_or_b32 s8, s3, s4
	s_delay_alu instid0(VALU_DEP_1)
	s_and_not1_b32 s1, s1, exec_lo
	v_readlane_b32 s3, v111, 18
	s_or_b32 s1, s1, s2
	s_and_b32 s2, s61, exec_lo
	v_writelane_b32 v110, s1, 11
	v_readlane_b32 s1, v111, 17
	s_and_not1_b32 s3, s3, exec_lo
	s_and_b32 s4, s60, exec_lo
	s_delay_alu instid0(SALU_CYCLE_1) | instskip(NEXT) | instid1(VALU_DEP_1)
	s_or_b32 s25, s3, s4
	s_and_not1_b32 s1, s1, exec_lo
	v_readlane_b32 s3, v111, 20
	s_or_b32 s28, s1, s2
	v_readlane_b32 s1, v111, 19
	s_and_b32 s2, s91, exec_lo
	s_and_b32 s4, s85, exec_lo
	s_and_not1_b32 s3, s3, exec_lo
	s_delay_alu instid0(VALU_DEP_1)
	s_and_not1_b32 s1, s1, exec_lo
	s_or_b32 s55, s3, s4
	s_or_b32 s26, s1, s2
	v_readlane_b32 s1, v111, 21
	s_and_b32 s2, s71, exec_lo
	v_readlane_b32 s3, v111, 22
	s_and_b32 s4, s70, exec_lo
	s_delay_alu instid0(VALU_DEP_2) | instskip(NEXT) | instid1(SALU_CYCLE_1)
	s_and_not1_b32 s1, s1, exec_lo
	s_or_b32 vcc_hi, s1, s2
	v_readlane_b32 s1, v111, 23
	s_and_not1_b32 s3, s3, exec_lo
	s_and_b32 s2, s69, exec_lo
	s_or_b32 s52, s3, s4
	v_readlane_b32 s3, v111, 24
	s_and_not1_b32 s1, s1, exec_lo
	s_and_b32 s4, s68, exec_lo
	s_or_b32 s54, s1, s2
	;; [unrolled: 4-line block ×19, first 2 shown]
	s_and_not1_b32 s3, s58, exec_lo
	s_and_not1_b32 s1, s1, exec_lo
	s_or_b32 s58, s3, s0
	s_or_b32 s5, s1, s2
.LBB7_185:                              ;   in Loop: Header=BB7_15 Depth=1
	s_or_b32 exec_lo, exec_lo, s59
	s_and_saveexec_b32 s0, s57
	s_cbranch_execz .LBB7_187
; %bb.186:                              ;   in Loop: Header=BB7_15 Depth=1
	v_mov_b32_e32 v1, 0
	v_dual_mov_b32 v73, v72 :: v_dual_mov_b32 v2, 0
	s_waitcnt vmcnt(0)
	v_mov_b32_e32 v9, v89
	v_lshl_add_u32 v0, v58, 3, v62
	s_or_b32 s58, s58, exec_lo
	s_mov_b32 s1, 0x9018
	s_clause 0x1
	scratch_store_b32 off, v89, s1 offset:2056
	scratch_store_b64 v0, v[72:73], off
.LBB7_187:                              ;   in Loop: Header=BB7_15 Depth=1
	s_or_b32 exec_lo, exec_lo, s0
	s_mov_b32 s0, -1
	s_mov_b32 s1, exec_lo
	s_delay_alu instid0(SALU_CYCLE_1) | instskip(SKIP_1) | instid1(SALU_CYCLE_1)
	v_writelane_b32 v110, s1, 16
	s_and_b32 s1, s1, s58
	s_mov_b32 exec_lo, s1
	s_cbranch_execz .LBB7_4
; %bb.188:                              ;   in Loop: Header=BB7_15 Depth=1
	s_waitcnt vmcnt(0)
	v_cmp_ne_u32_e64 s0, v9, v89
	s_mov_b32 s4, 0
	s_mov_b32 s1, exec_lo
	v_writelane_b32 v110, s8, 17
                                        ; implicit-def: $sgpr2
	v_cmpx_eq_u32_e64 v9, v89
	s_cbranch_execz .LBB7_190
; %bb.189:                              ;   in Loop: Header=BB7_15 Depth=1
	v_lshl_add_u32 v0, v58, 3, v62
	s_and_not1_b32 s0, s0, exec_lo
	s_mov_b32 s4, exec_lo
	s_mov_b32 s2, 0
	scratch_load_b64 v[3:4], v0, off
	s_waitcnt vmcnt(0)
	v_lshrrev_b32_e32 v0, 1, v3
	s_delay_alu instid0(VALU_DEP_1) | instskip(SKIP_1) | instid1(SALU_CYCLE_1)
	v_cmp_ne_u32_e32 vcc_lo, v0, v4
	s_and_b32 s3, vcc_lo, exec_lo
	s_or_b32 s0, s0, s3
.LBB7_190:                              ;   in Loop: Header=BB7_15 Depth=1
	s_or_b32 exec_lo, exec_lo, s1
	v_writelane_b32 v110, s99, 18
                                        ; implicit-def: $vgpr109 : SGPR spill to VGPR lane
	v_mov_b32_e32 v5, s2
	v_writelane_b32 v109, s50, 0
	s_mov_b32 s2, s5
	s_mov_b32 s1, s40
	v_writelane_b32 v110, s102, 19
	s_mov_b32 s100, s6
	v_writelane_b32 v109, s54, 1
	;; [unrolled: 2-line block ×3, first 2 shown]
	v_writelane_b32 v109, s52, 2
	v_writelane_b32 v110, s104, 21
	v_writelane_b32 v109, vcc_hi, 3
	v_writelane_b32 v110, s103, 22
	v_writelane_b32 v109, s55, 4
	;; [unrolled: 1-line block ×14, first 2 shown]
	s_delay_alu instid0(VALU_DEP_1) | instskip(SKIP_4) | instid1(SALU_CYCLE_1)
	v_readlane_b32 s27, v110, 17
	v_readlane_b32 s31, v110, 11
	;; [unrolled: 1-line block ×4, first 2 shown]
	s_mov_b32 s3, exec_lo
	v_writelane_b32 v109, s3, 8
	s_and_b32 s0, s3, s0
	v_writelane_b32 v109, s5, 9
	v_writelane_b32 v109, s6, 10
	s_mov_b32 exec_lo, s0
	s_cbranch_execz .LBB7_229
; %bb.191:                              ;   in Loop: Header=BB7_15 Depth=1
	v_cmp_lt_i32_e32 vcc_lo, 0, v58
	v_writelane_b32 v109, s4, 11
	s_and_saveexec_b32 s0, vcc_lo
	v_readlane_b32 s4, v123, 17
	v_readlane_b32 s5, v123, 18
	;; [unrolled: 1-line block ×8, first 2 shown]
	s_cbranch_execz .LBB7_194
; %bb.192:                              ;   in Loop: Header=BB7_15 Depth=1
	v_dual_mov_b32 v0, 0x410 :: v_dual_mov_b32 v3, 16
	v_mov_b32_e32 v4, v58
	s_mov_b32 s1, 0
.LBB7_193:                              ;   Parent Loop BB7_15 Depth=1
                                        ; =>  This Inner Loop Header: Depth=2
	global_load_b32 v5, v[104:105], off
	v_add_nc_u32_e32 v4, -1, v4
	s_waitcnt vmcnt(0)
	v_ashrrev_i32_e32 v6, 31, v5
	scratch_store_b32 v3, v5, off
	v_add_nc_u32_e32 v3, 4, v3
	v_lshlrev_b64 v[6:7], 2, v[5:6]
	s_delay_alu instid0(VALU_DEP_1) | instskip(NEXT) | instid1(VALU_DEP_2)
	v_add_co_u32 v6, vcc_lo, s4, v6
	v_add_co_ci_u32_e32 v7, vcc_lo, s5, v7, vcc_lo
	v_add_co_u32 v104, vcc_lo, v104, 4
	v_add_co_ci_u32_e32 v105, vcc_lo, 0, v105, vcc_lo
	global_load_b32 v6, v[6:7], off
	v_cmp_eq_u32_e32 vcc_lo, 0, v4
	s_or_b32 s1, vcc_lo, s1
	s_waitcnt vmcnt(0)
	scratch_store_b32 v0, v6, off
	v_add_nc_u32_e32 v0, 4, v0
	s_and_not1_b32 exec_lo, exec_lo, s1
	s_cbranch_execnz .LBB7_193
.LBB7_194:                              ;   in Loop: Header=BB7_15 Depth=1
	s_or_b32 exec_lo, exec_lo, s0
	v_readlane_b32 s5, v110, 18
	v_readlane_b32 s1, v109, 10
	v_readlane_b32 s7, v110, 20
	v_readlane_b32 s4, v110, 19
	v_readlane_b32 s9, v110, 22
	v_readlane_b32 s6, v110, 21
	v_readlane_b32 s11, v110, 24
	v_readlane_b32 s8, v110, 23
	v_readlane_b32 s13, v110, 26
	v_readlane_b32 s10, v110, 25
	v_readlane_b32 s15, v110, 28
	v_readlane_b32 s12, v110, 27
	v_readlane_b32 s17, v110, 30
	v_readlane_b32 s14, v110, 29
	v_readlane_b32 s19, v109, 0
	v_readlane_b32 s16, v110, 31
	v_readlane_b32 s21, v109, 2
	v_readlane_b32 s18, v109, 1
	v_readlane_b32 s23, v109, 4
	v_readlane_b32 s20, v109, 3
	v_readlane_b32 s25, v109, 6
	v_readlane_b32 s22, v109, 5
	v_mov_b32_e32 v3, 0
	v_readlane_b32 s2, v109, 9
	v_readlane_b32 s24, v109, 7
	v_readlane_b32 s27, v110, 17
	v_readlane_b32 s26, v110, 11
	v_readlane_b32 s34, v110, 12
	v_readlane_b32 s33, v110, 13
	s_mov_b32 s28, -1
	s_mov_b32 s0, 0
	s_mov_b32 s3, s40
	s_mov_b32 s30, exec_lo
                                        ; implicit-def: $vgpr5
	v_cmpx_gt_i32_e64 v9, v58
	s_cbranch_execz .LBB7_226
; %bb.195:                              ;   in Loop: Header=BB7_15 Depth=1
                                        ; implicit-def: $sgpr0
                                        ; kill: killed $sgpr0
	v_writelane_b32 v109, s30, 12
                                        ; implicit-def: $sgpr0
                                        ; kill: killed $sgpr0
	v_mov_b32_e32 v0, 0
                                        ; implicit-def: $sgpr0
                                        ; kill: killed $sgpr0
	v_mov_b32_e32 v10, v58
                                        ; implicit-def: $sgpr0
                                        ; kill: killed $sgpr0
	s_mov_b32 s11, 0
                                        ; implicit-def: $sgpr0
                                        ; kill: killed $sgpr0
                                        ; implicit-def: $sgpr10
                                        ; implicit-def: $sgpr9
                                        ; implicit-def: $sgpr8
                                        ; implicit-def: $sgpr7
                                        ; implicit-def: $sgpr25
                                        ; implicit-def: $vcc_hi
                                        ; implicit-def: $sgpr55
                                        ; implicit-def: $sgpr54
                                        ; implicit-def: $sgpr52
                                        ; implicit-def: $sgpr51
                                        ; implicit-def: $sgpr50
                                        ; implicit-def: $sgpr49
                                        ; implicit-def: $sgpr48
                                        ; implicit-def: $sgpr47
                                        ; implicit-def: $sgpr46
                                        ; implicit-def: $sgpr45
                                        ; implicit-def: $sgpr44
                                        ; implicit-def: $sgpr43
                                        ; implicit-def: $sgpr42
                                        ; implicit-def: $sgpr31
                                        ; implicit-def: $sgpr12
                                        ; implicit-def: $sgpr14
                                        ; implicit-def: $sgpr13
                                        ; implicit-def: $sgpr16
                                        ; implicit-def: $sgpr15
                                        ; implicit-def: $sgpr18
                                        ; implicit-def: $sgpr17
                                        ; implicit-def: $sgpr20
                                        ; implicit-def: $sgpr19
                                        ; implicit-def: $sgpr22
                                        ; implicit-def: $sgpr21
                                        ; implicit-def: $sgpr24
                                        ; implicit-def: $sgpr23
                                        ; implicit-def: $sgpr35
                                        ; implicit-def: $sgpr33
                                        ; implicit-def: $sgpr34
                                        ; implicit-def: $sgpr3
                                        ; implicit-def: $sgpr5
                                        ; implicit-def: $sgpr4
                                        ; implicit-def: $sgpr59
                                        ; implicit-def: $sgpr6
                                        ; implicit-def: $sgpr58
                                        ; implicit-def: $sgpr57
                                        ; implicit-def: $sgpr27
                                        ; implicit-def: $sgpr26
                                        ; implicit-def: $sgpr60
                                        ; implicit-def: $sgpr91
                                        ; implicit-def: $sgpr85
                                        ; implicit-def: $sgpr61
                                        ; implicit-def: $sgpr65
                                        ; implicit-def: $sgpr64
                                        ; implicit-def: $sgpr66
                                        ; implicit-def: $sgpr0
                                        ; kill: killed $sgpr0
	v_writelane_b32 v109, s40, 13
                                        ; implicit-def: $sgpr0
                                        ; kill: killed $sgpr0
                                        ; implicit-def: $sgpr0
                                        ; kill: killed $sgpr0
	;; [unrolled: 2-line block ×5, first 2 shown]
	s_branch .LBB7_201
.LBB7_196:                              ;   in Loop: Header=BB7_201 Depth=2
	s_or_b32 exec_lo, exec_lo, s38
	v_mov_b32_e32 v5, -1
	s_and_not1_b32 s29, s29, exec_lo
	s_and_b32 s37, s37, exec_lo
	s_and_not1_b32 s30, s30, exec_lo
	s_or_b32 s29, s29, s37
	s_or_not1_b32 s37, s36, exec_lo
.LBB7_197:                              ;   in Loop: Header=BB7_201 Depth=2
	s_or_b32 exec_lo, exec_lo, s31
	s_delay_alu instid0(SALU_CYCLE_1)
	s_and_not1_b32 s0, s0, exec_lo
	s_and_b32 s29, s29, exec_lo
	s_and_not1_b32 s1, s1, exec_lo
	s_and_b32 s30, s30, exec_lo
	s_or_b32 s0, s0, s29
	s_or_b32 s1, s1, s30
	s_or_not1_b32 s40, s37, exec_lo
.LBB7_198:                              ;   in Loop: Header=BB7_201 Depth=2
	s_or_b32 exec_lo, exec_lo, s28
	s_delay_alu instid0(SALU_CYCLE_1)
	s_and_b32 s41, s0, exec_lo
	s_mov_b32 s0, s40
	s_or_not1_b32 s74, s1, exec_lo
	s_and_b32 s40, s69, exec_lo
	s_and_b32 s39, s69, exec_lo
	;; [unrolled: 1-line block ×22, first 2 shown]
	s_or_not1_b32 s92, s2, exec_lo
	s_and_b32 s87, s69, exec_lo
	s_and_b32 s68, s69, exec_lo
	s_and_b32 s70, s69, exec_lo
	s_and_b32 s71, s69, exec_lo
	s_and_b32 s2, s69, exec_lo
	s_and_b32 s1, s69, exec_lo
	s_or_not1_b32 s0, s0, exec_lo
.LBB7_199:                              ;   in Loop: Header=BB7_201 Depth=2
	s_delay_alu instid0(VALU_DEP_1) | instskip(NEXT) | instid1(VALU_DEP_1)
	v_readlane_b32 s69, v109, 15
	s_or_b32 exec_lo, exec_lo, s69
	s_delay_alu instid0(SALU_CYCLE_1)
	s_and_not1_b32 s66, s66, exec_lo
	s_and_b32 s41, s41, exec_lo
	s_and_b32 s40, s40, exec_lo
	s_or_b32 s66, s66, s41
	s_and_not1_b32 s41, s65, exec_lo
	s_and_not1_b32 s61, s61, exec_lo
	s_and_b32 s39, s39, exec_lo
	s_and_not1_b32 s4, s4, exec_lo
	s_and_b32 s29, s29, exec_lo
	s_or_b32 s65, s41, s40
	s_or_b32 s61, s61, s39
	s_and_not1_b32 s39, s85, exec_lo
	s_and_b32 s40, s73, exec_lo
	s_or_b32 s4, s4, s29
	s_and_not1_b32 s5, s5, exec_lo
	s_and_b32 s29, s96, exec_lo
	;; [unrolled: 3-line block ×9, first 2 shown]
	s_and_not1_b32 s21, s21, exec_lo
	s_and_b32 s29, s101, exec_lo
	s_or_b32 s24, s24, s28
	s_and_not1_b32 s22, s22, exec_lo
	s_and_b32 s28, s100, exec_lo
	s_and_not1_b32 s26, s26, exec_lo
	s_and_b32 s37, s37, exec_lo
	s_or_b32 s59, s31, s30
	s_and_not1_b32 s3, s3, exec_lo
	s_and_b32 s30, s95, exec_lo
	s_or_b32 s21, s21, s29
	;; [unrolled: 3-line block ×3, first 2 shown]
	s_and_not1_b32 s20, s20, exec_lo
	s_and_b32 s28, s92, exec_lo
	s_and_not1_b32 s64, s64, exec_lo
	s_and_b32 s69, s74, exec_lo
	s_or_b32 s26, s26, s37
	s_and_not1_b32 s27, s27, exec_lo
	s_and_b32 s37, s93, exec_lo
	s_or_b32 s3, s3, s30
	;; [unrolled: 3-line block ×4, first 2 shown]
	s_and_not1_b32 s18, s18, exec_lo
	s_and_b32 s28, s68, exec_lo
	s_and_not1_b32 s13, s13, exec_lo
	s_and_b32 s2, s2, exec_lo
	s_or_b32 s64, s64, s69
	s_and_not1_b32 s41, s91, exec_lo
	s_and_b32 s69, s72, exec_lo
	s_or_b32 s27, s27, s37
	;; [unrolled: 3-line block ×6, first 2 shown]
	s_and_not1_b32 s2, s14, exec_lo
	s_and_b32 s1, s1, exec_lo
	s_and_not1_b32 s12, s12, exec_lo
	s_and_b32 s0, s0, exec_lo
	s_or_b32 s91, s41, s69
	s_or_b32 s6, s6, s37
	;; [unrolled: 1-line block ×7, first 2 shown]
.LBB7_200:                              ;   in Loop: Header=BB7_201 Depth=2
	s_or_b32 exec_lo, exec_lo, s67
	s_xor_b32 s0, s66, -1
	s_xor_b32 s1, s64, -1
	s_and_b32 s2, exec_lo, s12
	v_readlane_b32 s29, v109, 17
	s_or_b32 s11, s2, s11
	v_readlane_b32 s2, v109, 14
	s_and_b32 s28, s65, exec_lo
	s_and_b32 s30, s85, exec_lo
	s_and_not1_b32 s29, s29, exec_lo
	s_and_not1_b32 s25, s25, exec_lo
	;; [unrolled: 1-line block ×4, first 2 shown]
	s_or_b32 s31, s2, s28
	v_readlane_b32 s2, v109, 16
	s_and_b32 s28, s61, exec_lo
	s_and_b32 s0, s0, exec_lo
	s_and_not1_b32 s10, s10, exec_lo
	s_and_b32 s1, s1, exec_lo
	s_and_not1_b32 s2, s2, exec_lo
	s_or_b32 s10, s10, s1
	s_or_b32 s2, s2, s28
	s_and_b32 s28, s91, exec_lo
	v_writelane_b32 v109, s2, 16
	s_or_b32 s2, s29, s30
	s_and_b32 s30, s60, exec_lo
	v_writelane_b32 v109, s2, 17
	s_delay_alu instid0(VALU_DEP_1) | instskip(SKIP_1) | instid1(VALU_DEP_2)
	v_readlane_b32 s2, v109, 18
	v_readlane_b32 s29, v109, 19
	s_and_not1_b32 s2, s2, exec_lo
	s_delay_alu instid0(VALU_DEP_1)
	s_and_not1_b32 s29, s29, exec_lo
	s_or_b32 s2, s2, s28
	s_and_b32 s28, s26, exec_lo
	v_writelane_b32 v109, s2, 18
	s_or_b32 s2, s29, s30
	s_and_b32 s30, s27, exec_lo
	v_writelane_b32 v109, s2, 19
	s_delay_alu instid0(VALU_DEP_1) | instskip(SKIP_1) | instid1(VALU_DEP_2)
	v_readlane_b32 s2, v109, 20
	v_readlane_b32 s29, v109, 21
	s_and_not1_b32 s2, s2, exec_lo
	s_delay_alu instid0(VALU_DEP_1)
	s_and_not1_b32 s29, s29, exec_lo
	;; [unrolled: 12-line block ×4, first 2 shown]
	s_or_b32 s2, s2, s28
	s_and_b32 s28, s4, exec_lo
	v_writelane_b32 v109, s2, 24
	s_or_b32 s2, s29, s30
	s_and_not1_b32 s29, s42, exec_lo
	s_and_b32 s30, s5, exec_lo
	v_writelane_b32 v109, s2, 25
	s_or_b32 s42, s29, s30
	s_and_not1_b32 s29, s44, exec_lo
	s_and_b32 s30, s34, exec_lo
	s_delay_alu instid0(VALU_DEP_1) | instskip(SKIP_3) | instid1(VALU_DEP_1)
	v_readlane_b32 s2, v109, 26
	s_or_b32 s44, s29, s30
	s_and_not1_b32 s29, s46, exec_lo
	s_and_b32 s30, s35, exec_lo
	s_and_not1_b32 s2, s2, exec_lo
	s_or_b32 s46, s29, s30
	s_or_b32 s2, s2, s28
	s_and_b32 s28, s3, exec_lo
	v_writelane_b32 v109, s2, 26
	s_and_not1_b32 s2, s43, exec_lo
	s_and_not1_b32 s29, s48, exec_lo
	s_or_b32 s43, s2, s28
	s_and_not1_b32 s2, s45, exec_lo
	s_and_b32 s28, s33, exec_lo
	s_and_b32 s30, s24, exec_lo
	s_or_b32 s45, s2, s28
	s_and_not1_b32 s2, s47, exec_lo
	s_and_b32 s28, s23, exec_lo
	s_or_b32 s48, s29, s30
	s_or_b32 s47, s2, s28
	s_and_not1_b32 s2, s49, exec_lo
	s_and_b32 s28, s21, exec_lo
	s_and_not1_b32 s29, s50, exec_lo
	s_or_b32 s49, s2, s28
	s_and_not1_b32 s2, s51, exec_lo
	s_and_b32 s28, s19, exec_lo
	s_and_b32 s30, s22, exec_lo
	s_or_b32 s51, s2, s28
	s_and_not1_b32 s2, s54, exec_lo
	s_and_b32 s28, s17, exec_lo
	s_or_b32 s50, s29, s30
	s_and_not1_b32 s29, s52, exec_lo
	s_and_b32 s30, s20, exec_lo
	s_or_b32 s54, s2, s28
	s_and_not1_b32 s2, vcc_hi, exec_lo
	s_and_b32 s28, s15, exec_lo
	s_or_b32 s52, s29, s30
	s_and_not1_b32 s29, s55, exec_lo
	s_and_b32 s30, s18, exec_lo
	s_or_b32 vcc_hi, s2, s28
	s_and_not1_b32 s2, s7, exec_lo
	s_and_b32 s7, s13, exec_lo
	s_or_b32 s55, s29, s30
	s_and_b32 s29, s16, exec_lo
	s_and_b32 s28, s14, exec_lo
	s_or_b32 s7, s2, s7
	s_and_not1_b32 s2, s9, exec_lo
	s_or_b32 s25, s25, s29
	s_or_b32 s8, s8, s28
	;; [unrolled: 1-line block ×3, first 2 shown]
	s_and_not1_b32 exec_lo, exec_lo, s11
	s_cbranch_execz .LBB7_223
.LBB7_201:                              ;   Parent Loop BB7_15 Depth=1
                                        ; =>  This Loop Header: Depth=2
                                        ;       Child Loop BB7_211 Depth 3
	s_delay_alu instid0(VALU_DEP_2)
	v_lshl_add_u32 v3, v10, 3, v62
	s_and_not1_b32 s66, s66, exec_lo
	s_or_b32 s64, s64, exec_lo
	s_and_not1_b32 s65, s65, exec_lo
	s_and_not1_b32 s61, s61, exec_lo
	scratch_load_b64 v[3:4], v3, off
	s_and_not1_b32 s85, s85, exec_lo
	s_and_not1_b32 s91, s91, exec_lo
	;; [unrolled: 1-line block ×19, first 2 shown]
	s_or_b32 s19, s19, exec_lo
	s_and_not1_b32 s20, s20, exec_lo
	s_and_not1_b32 s17, s17, exec_lo
	;; [unrolled: 1-line block ×7, first 2 shown]
	s_or_b32 s12, s12, exec_lo
	v_writelane_b32 v109, s31, 14
	s_waitcnt vmcnt(0)
	v_lshrrev_b32_e32 v5, 1, v3
	s_delay_alu instid0(VALU_DEP_1)
	v_cmp_gt_i32_e32 vcc_lo, v5, v4
                                        ; implicit-def: $vgpr5
	s_and_saveexec_b32 s67, vcc_lo
	s_cbranch_execz .LBB7_200
; %bb.202:                              ;   in Loop: Header=BB7_201 Depth=2
	v_ashrrev_i32_e32 v12, 1, v4
	v_lshrrev_b32_e32 v11, 2, v3
	s_mov_b32 s0, -1
	s_mov_b32 s1, 0
	s_mov_b32 s2, 0
	;; [unrolled: 1-line block ×3, first 2 shown]
	v_max_i32_e32 v5, v11, v12
	s_mov_b32 s70, 0
	s_mov_b32 s68, 0
	;; [unrolled: 1-line block ×3, first 2 shown]
	s_mov_b32 s92, -1
	v_cmp_lt_i32_e32 vcc_lo, v5, v10
	s_mov_b32 s99, 0
	s_mov_b32 s100, 0
	s_mov_b32 s101, 0
	s_mov_b32 s102, 0
	s_mov_b32 s103, 0
	s_mov_b32 s104, 0
	s_mov_b32 s94, 0
	s_mov_b32 s28, 0
	s_mov_b32 s95, 0
	s_mov_b32 s96, 0
	s_mov_b32 s29, 0
	s_mov_b32 s30, 0
	s_mov_b32 s97, 0
	s_mov_b32 s31, 0
	s_mov_b32 s36, 0
	s_mov_b32 s93, 0
	s_mov_b32 s37, 0
	s_mov_b32 s38, 0
	s_mov_b32 s72, 0
	s_mov_b32 s73, 0
	s_mov_b32 s39, 0
	s_mov_b32 s40, 0
	s_mov_b32 s74, -1
	s_mov_b32 s41, 0
                                        ; implicit-def: $vgpr5
	s_mov_b32 s69, exec_lo
	s_delay_alu instid0(SALU_CYCLE_1) | instskip(SKIP_1) | instid1(SALU_CYCLE_1)
	v_writelane_b32 v109, s69, 15
	s_and_b32 s69, s69, vcc_lo
	s_mov_b32 exec_lo, s69
	s_cbranch_execz .LBB7_199
; %bb.203:                              ;   in Loop: Header=BB7_201 Depth=2
	v_lshl_add_u32 v5, v12, 2, 16
	v_lshl_add_u32 v6, v11, 2, 16
	v_mov_b32_e32 v7, -1
	s_mov_b32 s40, -1
	s_mov_b32 s69, 0
	s_clause 0x1
	scratch_load_b32 v5, v5, off
	scratch_load_b32 v6, v6, off
	s_mov_b32 s30, -1
	s_mov_b32 s1, -1
                                        ; implicit-def: $sgpr29
	s_waitcnt vmcnt(1)
	v_cmp_ne_u32_e32 vcc_lo, -1, v5
	s_waitcnt vmcnt(0)
	v_cmp_ne_u32_e64 s0, -1, v6
	s_delay_alu instid0(VALU_DEP_1)
	s_and_b32 s2, vcc_lo, s0
	s_mov_b32 s0, 0
	s_and_saveexec_b32 s71, s2
	s_cbranch_execz .LBB7_217
; %bb.204:                              ;   in Loop: Header=BB7_201 Depth=2
	v_and_b32_e32 v4, 1, v4
	v_bfe_u32 v3, v3, 1, 1
	v_readlane_b32 s0, v122, 2
	v_readlane_b32 s1, v122, 3
	s_mov_b32 s0, exec_lo
	v_lshl_or_b32 v5, v5, 1, v4
	v_lshl_or_b32 v3, v6, 1, v3
	s_delay_alu instid0(VALU_DEP_1) | instskip(SKIP_1) | instid1(VALU_DEP_2)
	v_min_i32_e32 v4, v5, v3
	v_max_i32_e32 v3, v5, v3
	v_lshrrev_b32_e32 v5, 1, v4
	v_mul_lo_u32 v8, 0xed558ccd, v4
	s_delay_alu instid0(VALU_DEP_2) | instskip(NEXT) | instid1(VALU_DEP_1)
	v_xor_b32_e32 v7, v3, v5
	v_mul_lo_u32 v13, 0xff51afd7, v7
	v_mad_u64_u32 v[5:6], null, 0xed558ccd, v7, 0
	s_delay_alu instid0(VALU_DEP_1) | instskip(NEXT) | instid1(VALU_DEP_1)
	v_add3_u32 v6, v6, v13, v8
	v_lshrrev_b32_e32 v7, 1, v6
	v_mul_lo_u32 v8, 0x1a85ec53, v6
	s_delay_alu instid0(VALU_DEP_2) | instskip(NEXT) | instid1(VALU_DEP_1)
	v_xor_b32_e32 v7, v7, v5
	v_mul_lo_u32 v13, 0xc4ceb9fe, v7
	v_mad_u64_u32 v[5:6], null, 0x1a85ec53, v7, 0
	s_delay_alu instid0(VALU_DEP_1) | instskip(NEXT) | instid1(VALU_DEP_1)
	v_add3_u32 v7, v6, v13, v8
	v_lshrrev_b32_e32 v6, 1, v7
	v_or_b32_e32 v73, s1, v7
	s_delay_alu instid0(VALU_DEP_2) | instskip(NEXT) | instid1(VALU_DEP_2)
	v_xor_b32_e32 v8, v6, v5
                                        ; implicit-def: $vgpr5_vgpr6
	v_cmpx_ne_u64_e32 0, v[72:73]
	s_xor_b32 s28, exec_lo, s0
	s_cbranch_execz .LBB7_206
; %bb.205:                              ;   in Loop: Header=BB7_201 Depth=2
	v_readlane_b32 s30, v122, 2
	v_readlane_b32 s31, v122, 3
	s_delay_alu instid0(VALU_DEP_2) | instskip(NEXT) | instid1(VALU_DEP_2)
	v_cvt_f32_u32_e32 v5, s30
	v_cvt_f32_u32_e32 v6, s31
	s_sub_u32 s0, 0, s30
	s_subb_u32 s1, 0, s31
	s_delay_alu instid0(VALU_DEP_1) | instskip(NEXT) | instid1(VALU_DEP_1)
	v_fmac_f32_e32 v5, 0x4f800000, v6
	v_rcp_f32_e32 v5, v5
	s_waitcnt_depctr 0xfff
	v_mul_f32_e32 v5, 0x5f7ffffc, v5
	s_delay_alu instid0(VALU_DEP_1) | instskip(NEXT) | instid1(VALU_DEP_1)
	v_mul_f32_e32 v6, 0x2f800000, v5
	v_trunc_f32_e32 v6, v6
	s_delay_alu instid0(VALU_DEP_1) | instskip(SKIP_1) | instid1(VALU_DEP_2)
	v_fmac_f32_e32 v5, 0xcf800000, v6
	v_cvt_u32_f32_e32 v6, v6
	v_cvt_u32_f32_e32 v5, v5
	s_delay_alu instid0(VALU_DEP_2) | instskip(NEXT) | instid1(VALU_DEP_2)
	v_mul_lo_u32 v13, s0, v6
	v_mul_hi_u32 v14, s0, v5
	v_mul_lo_u32 v15, s1, v5
	s_delay_alu instid0(VALU_DEP_2) | instskip(SKIP_1) | instid1(VALU_DEP_2)
	v_add_nc_u32_e32 v13, v14, v13
	v_mul_lo_u32 v14, s0, v5
	v_add_nc_u32_e32 v13, v13, v15
	s_delay_alu instid0(VALU_DEP_2) | instskip(NEXT) | instid1(VALU_DEP_2)
	v_mul_hi_u32 v15, v5, v14
	v_mul_lo_u32 v16, v5, v13
	v_mul_hi_u32 v17, v5, v13
	v_mul_hi_u32 v18, v6, v14
	v_mul_lo_u32 v14, v6, v14
	v_mul_hi_u32 v19, v6, v13
	v_mul_lo_u32 v13, v6, v13
	v_add_co_u32 v15, vcc_lo, v15, v16
	v_add_co_ci_u32_e32 v16, vcc_lo, 0, v17, vcc_lo
	s_delay_alu instid0(VALU_DEP_2) | instskip(NEXT) | instid1(VALU_DEP_2)
	v_add_co_u32 v14, vcc_lo, v15, v14
	v_add_co_ci_u32_e32 v14, vcc_lo, v16, v18, vcc_lo
	v_add_co_ci_u32_e32 v15, vcc_lo, 0, v19, vcc_lo
	s_delay_alu instid0(VALU_DEP_2) | instskip(NEXT) | instid1(VALU_DEP_2)
	v_add_co_u32 v13, vcc_lo, v14, v13
	v_add_co_ci_u32_e32 v14, vcc_lo, 0, v15, vcc_lo
	s_delay_alu instid0(VALU_DEP_2) | instskip(NEXT) | instid1(VALU_DEP_2)
	v_add_co_u32 v5, vcc_lo, v5, v13
	v_add_co_ci_u32_e32 v6, vcc_lo, v6, v14, vcc_lo
	s_delay_alu instid0(VALU_DEP_2) | instskip(SKIP_1) | instid1(VALU_DEP_3)
	v_mul_hi_u32 v13, s0, v5
	v_mul_lo_u32 v15, s1, v5
	v_mul_lo_u32 v14, s0, v6
	s_delay_alu instid0(VALU_DEP_1) | instskip(SKIP_1) | instid1(VALU_DEP_2)
	v_add_nc_u32_e32 v13, v13, v14
	v_mul_lo_u32 v14, s0, v5
	v_add_nc_u32_e32 v13, v13, v15
	s_delay_alu instid0(VALU_DEP_2) | instskip(NEXT) | instid1(VALU_DEP_2)
	v_mul_hi_u32 v15, v5, v14
	v_mul_lo_u32 v16, v5, v13
	v_mul_hi_u32 v17, v5, v13
	v_mul_hi_u32 v18, v6, v14
	v_mul_lo_u32 v14, v6, v14
	v_mul_hi_u32 v19, v6, v13
	v_mul_lo_u32 v13, v6, v13
	v_add_co_u32 v15, vcc_lo, v15, v16
	v_add_co_ci_u32_e32 v16, vcc_lo, 0, v17, vcc_lo
	s_delay_alu instid0(VALU_DEP_2) | instskip(NEXT) | instid1(VALU_DEP_2)
	v_add_co_u32 v14, vcc_lo, v15, v14
	v_add_co_ci_u32_e32 v14, vcc_lo, v16, v18, vcc_lo
	v_add_co_ci_u32_e32 v15, vcc_lo, 0, v19, vcc_lo
	s_delay_alu instid0(VALU_DEP_2) | instskip(NEXT) | instid1(VALU_DEP_2)
	v_add_co_u32 v13, vcc_lo, v14, v13
	v_add_co_ci_u32_e32 v14, vcc_lo, 0, v15, vcc_lo
	s_delay_alu instid0(VALU_DEP_2) | instskip(NEXT) | instid1(VALU_DEP_2)
	v_add_co_u32 v15, vcc_lo, v5, v13
	v_add_co_ci_u32_e32 v17, vcc_lo, v6, v14, vcc_lo
	s_delay_alu instid0(VALU_DEP_2) | instskip(SKIP_1) | instid1(VALU_DEP_3)
	v_mul_hi_u32 v18, v8, v15
	v_mad_u64_u32 v[13:14], null, v7, v15, 0
	v_mad_u64_u32 v[5:6], null, v8, v17, 0
	;; [unrolled: 1-line block ×3, first 2 shown]
	s_delay_alu instid0(VALU_DEP_2) | instskip(NEXT) | instid1(VALU_DEP_3)
	v_add_co_u32 v5, vcc_lo, v18, v5
	v_add_co_ci_u32_e32 v6, vcc_lo, 0, v6, vcc_lo
	s_delay_alu instid0(VALU_DEP_2) | instskip(NEXT) | instid1(VALU_DEP_2)
	v_add_co_u32 v5, vcc_lo, v5, v13
	v_add_co_ci_u32_e32 v5, vcc_lo, v6, v14, vcc_lo
	v_add_co_ci_u32_e32 v6, vcc_lo, 0, v16, vcc_lo
	s_delay_alu instid0(VALU_DEP_2) | instskip(NEXT) | instid1(VALU_DEP_2)
	v_add_co_u32 v13, vcc_lo, v5, v15
	v_add_co_ci_u32_e32 v14, vcc_lo, 0, v6, vcc_lo
	s_delay_alu instid0(VALU_DEP_2) | instskip(SKIP_1) | instid1(VALU_DEP_3)
	v_mul_lo_u32 v15, s31, v13
	v_mad_u64_u32 v[5:6], null, s30, v13, 0
	v_mul_lo_u32 v13, s30, v14
	s_delay_alu instid0(VALU_DEP_2) | instskip(NEXT) | instid1(VALU_DEP_2)
	v_sub_co_u32 v5, vcc_lo, v8, v5
	v_add3_u32 v6, v6, v13, v15
	s_delay_alu instid0(VALU_DEP_2) | instskip(NEXT) | instid1(VALU_DEP_2)
	v_cmp_le_u32_e64 s1, s30, v5
	v_sub_nc_u32_e32 v13, v7, v6
	s_delay_alu instid0(VALU_DEP_1) | instskip(SKIP_2) | instid1(VALU_DEP_3)
	v_subrev_co_ci_u32_e64 v8, s0, s31, v13, vcc_lo
	v_sub_co_u32 v13, s0, v5, s30
	v_sub_co_ci_u32_e32 v6, vcc_lo, v7, v6, vcc_lo
	v_subrev_co_ci_u32_e64 v14, s2, 0, v8, s0
	s_delay_alu instid0(VALU_DEP_3) | instskip(SKIP_1) | instid1(VALU_DEP_4)
	v_cmp_le_u32_e32 vcc_lo, s30, v13
	v_cndmask_b32_e64 v7, 0, -1, s1
	v_cmp_le_u32_e64 s1, s31, v6
	s_delay_alu instid0(VALU_DEP_4) | instskip(SKIP_3) | instid1(VALU_DEP_4)
	v_cmp_le_u32_e64 s2, s31, v14
	v_subrev_co_ci_u32_e64 v8, s0, s31, v8, s0
	v_cndmask_b32_e64 v15, 0, -1, vcc_lo
	v_cmp_eq_u32_e32 vcc_lo, s31, v14
	v_cndmask_b32_e64 v16, 0, -1, s2
	v_cmp_eq_u32_e64 s2, s31, v6
	v_cndmask_b32_e64 v17, 0, -1, s1
	s_delay_alu instid0(VALU_DEP_3) | instskip(SKIP_2) | instid1(VALU_DEP_4)
	v_cndmask_b32_e32 v15, v16, v15, vcc_lo
	v_sub_co_u32 v16, vcc_lo, v13, s30
	v_subrev_co_ci_u32_e32 v8, vcc_lo, 0, v8, vcc_lo
	v_cndmask_b32_e64 v7, v17, v7, s2
	s_delay_alu instid0(VALU_DEP_4) | instskip(NEXT) | instid1(VALU_DEP_2)
	v_cmp_ne_u32_e32 vcc_lo, 0, v15
	v_cmp_ne_u32_e64 s0, 0, v7
	s_delay_alu instid0(VALU_DEP_4) | instskip(SKIP_1) | instid1(VALU_DEP_2)
	v_cndmask_b32_e32 v7, v14, v8, vcc_lo
	v_cndmask_b32_e32 v8, v13, v16, vcc_lo
	v_cndmask_b32_e64 v6, v6, v7, s0
	s_delay_alu instid0(VALU_DEP_2)
	v_cndmask_b32_e64 v5, v5, v8, s0
                                        ; implicit-def: $vgpr8
.LBB7_206:                              ;   in Loop: Header=BB7_201 Depth=2
	s_and_not1_saveexec_b32 s0, s28
	s_cbranch_execz .LBB7_208
; %bb.207:                              ;   in Loop: Header=BB7_201 Depth=2
	v_readlane_b32 s28, v122, 2
	v_readlane_b32 s29, v122, 3
	s_delay_alu instid0(VALU_DEP_2) | instskip(SKIP_1) | instid1(VALU_DEP_1)
	v_cvt_f32_u32_e32 v5, s28
	s_sub_i32 s1, 0, s28
	v_rcp_iflag_f32_e32 v5, v5
	s_waitcnt_depctr 0xfff
	v_mul_f32_e32 v5, 0x4f7ffffe, v5
	s_delay_alu instid0(VALU_DEP_1) | instskip(NEXT) | instid1(VALU_DEP_1)
	v_cvt_u32_f32_e32 v5, v5
	v_mul_lo_u32 v6, s1, v5
	s_delay_alu instid0(VALU_DEP_1) | instskip(NEXT) | instid1(VALU_DEP_1)
	v_mul_hi_u32 v6, v5, v6
	v_add_nc_u32_e32 v5, v5, v6
	s_delay_alu instid0(VALU_DEP_1) | instskip(NEXT) | instid1(VALU_DEP_1)
	v_mul_hi_u32 v5, v8, v5
	v_mul_lo_u32 v5, v5, s28
	s_delay_alu instid0(VALU_DEP_1) | instskip(NEXT) | instid1(VALU_DEP_1)
	v_sub_nc_u32_e32 v5, v8, v5
	v_subrev_nc_u32_e32 v6, s28, v5
	v_cmp_le_u32_e32 vcc_lo, s28, v5
	s_delay_alu instid0(VALU_DEP_2) | instskip(NEXT) | instid1(VALU_DEP_1)
	v_cndmask_b32_e32 v5, v5, v6, vcc_lo
	v_subrev_nc_u32_e32 v6, s28, v5
	v_cmp_le_u32_e32 vcc_lo, s28, v5
	s_delay_alu instid0(VALU_DEP_2)
	v_dual_cndmask_b32 v5, v5, v6 :: v_dual_mov_b32 v6, v72
.LBB7_208:                              ;   in Loop: Header=BB7_201 Depth=2
	s_or_b32 exec_lo, exec_lo, s0
	s_delay_alu instid0(VALU_DEP_1)
	v_lshlrev_b64 v[7:8], 3, v[5:6]
	v_readlane_b32 s28, v123, 13
	v_readlane_b32 s29, v123, 14
	s_mov_b32 s1, -1
	s_mov_b32 s0, exec_lo
	v_readlane_b32 s30, v123, 15
	v_add_co_u32 v7, vcc_lo, s28, v7
	v_add_co_ci_u32_e32 v8, vcc_lo, s29, v8, vcc_lo
	v_readlane_b32 s31, v123, 16
                                        ; implicit-def: $sgpr28
	global_load_b64 v[7:8], v[7:8], off
	s_waitcnt vmcnt(0)
	v_cmpx_ne_u64_e64 v[7:8], v[3:4]
	s_cbranch_execz .LBB7_214
; %bb.209:                              ;   in Loop: Header=BB7_201 Depth=2
	s_mov_b32 s1, 0
                                        ; implicit-def: $sgpr2
                                        ; implicit-def: $sgpr29
                                        ; implicit-def: $sgpr28
	s_set_inst_prefetch_distance 0x1
	s_branch .LBB7_211
.LBB7_210:                              ;   in Loop: Header=BB7_211 Depth=3
	s_or_b32 exec_lo, exec_lo, s30
	s_xor_b32 s30, s28, -1
	s_and_b32 s31, exec_lo, s29
	s_delay_alu instid0(SALU_CYCLE_1) | instskip(SKIP_2) | instid1(SALU_CYCLE_1)
	s_or_b32 s1, s31, s1
	s_and_not1_b32 s2, s2, exec_lo
	s_and_b32 s30, s30, exec_lo
	s_or_b32 s2, s2, s30
	s_and_not1_b32 exec_lo, exec_lo, s1
	s_cbranch_execz .LBB7_213
.LBB7_211:                              ;   Parent Loop BB7_15 Depth=1
                                        ;     Parent Loop BB7_201 Depth=2
                                        ; =>    This Inner Loop Header: Depth=3
	v_cmp_ne_u64_e32 vcc_lo, -1, v[7:8]
	s_or_b32 s28, s28, exec_lo
	s_or_b32 s29, s29, exec_lo
                                        ; implicit-def: $vgpr7_vgpr8
	s_and_saveexec_b32 s30, vcc_lo
	s_cbranch_execz .LBB7_210
; %bb.212:                              ;   in Loop: Header=BB7_211 Depth=3
	v_add_co_u32 v5, vcc_lo, v5, 1
	v_readlane_b32 s36, v122, 2
	v_add_co_ci_u32_e32 v6, vcc_lo, 0, v6, vcc_lo
	v_readlane_b32 s37, v122, 3
	s_and_not1_b32 s29, s29, exec_lo
	s_and_not1_b32 s28, s28, exec_lo
	s_delay_alu instid0(VALU_DEP_1)
	v_cmp_ne_u64_e32 vcc_lo, s[36:37], v[5:6]
	v_readlane_b32 s36, v123, 13
	v_readlane_b32 s37, v123, 14
	;; [unrolled: 1-line block ×4, first 2 shown]
	v_dual_cndmask_b32 v6, 0, v6 :: v_dual_cndmask_b32 v5, 0, v5
	s_delay_alu instid0(VALU_DEP_1) | instskip(NEXT) | instid1(VALU_DEP_1)
	v_lshlrev_b64 v[7:8], 3, v[5:6]
	v_add_co_u32 v7, vcc_lo, s36, v7
	s_delay_alu instid0(VALU_DEP_2) | instskip(SKIP_4) | instid1(SALU_CYCLE_1)
	v_add_co_ci_u32_e32 v8, vcc_lo, s37, v8, vcc_lo
	global_load_b64 v[7:8], v[7:8], off
	s_waitcnt vmcnt(0)
	v_cmp_eq_u64_e32 vcc_lo, v[7:8], v[3:4]
	s_and_b32 s31, vcc_lo, exec_lo
	s_or_b32 s29, s29, s31
	s_branch .LBB7_210
.LBB7_213:                              ;   in Loop: Header=BB7_201 Depth=2
	s_set_inst_prefetch_distance 0x2
	s_or_b32 exec_lo, exec_lo, s1
	s_mov_b32 s28, -1
	s_or_not1_b32 s1, s2, exec_lo
.LBB7_214:                              ;   in Loop: Header=BB7_201 Depth=2
	s_or_b32 exec_lo, exec_lo, s0
	v_mov_b32_e32 v7, s28
	s_and_saveexec_b32 s0, s1
	s_cbranch_execz .LBB7_216
; %bb.215:                              ;   in Loop: Header=BB7_201 Depth=2
	v_lshlrev_b64 v[3:4], 2, v[5:6]
	v_readlane_b32 s28, v123, 13
	v_readlane_b32 s30, v123, 15
	;; [unrolled: 1-line block ×4, first 2 shown]
	s_delay_alu instid0(VALU_DEP_3) | instskip(NEXT) | instid1(VALU_DEP_3)
	v_add_co_u32 v3, vcc_lo, s30, v3
	v_add_co_ci_u32_e32 v4, vcc_lo, s31, v4, vcc_lo
	global_load_b32 v7, v[3:4], off
.LBB7_216:                              ;   in Loop: Header=BB7_201 Depth=2
	s_or_b32 exec_lo, exec_lo, s0
	s_waitcnt vmcnt(0)
	v_cmp_ne_u32_e32 vcc_lo, v7, v94
	s_mov_b32 s0, exec_lo
	s_mov_b32 s29, -1
	s_xor_b32 s1, exec_lo, -1
	s_or_not1_b32 s30, vcc_lo, exec_lo
.LBB7_217:                              ;   in Loop: Header=BB7_201 Depth=2
	s_or_b32 exec_lo, exec_lo, s71
	v_mov_b32_e32 v5, s29
	s_mov_b32 s2, -1
	s_and_saveexec_b32 s28, s30
	s_cbranch_execz .LBB7_198
; %bb.218:                              ;   in Loop: Header=BB7_201 Depth=2
	v_cmp_ne_u32_e64 s36, -1, v7
	v_mov_b32_e32 v5, s29
	s_mov_b32 s30, s1
	s_mov_b32 s29, s0
	s_mov_b32 s2, exec_lo
	v_cmpx_eq_u32_e32 -1, v7
; %bb.219:                              ;   in Loop: Header=BB7_201 Depth=2
	v_add_nc_u32_e32 v3, 1, v0
	v_cmp_lt_i32_e32 vcc_lo, v0, v77
	v_mov_b32_e32 v5, -1
	s_and_not1_b32 s31, s36, exec_lo
	s_or_b32 s29, s0, exec_lo
	v_mov_b32_e32 v0, v3
	s_and_b32 s36, vcc_lo, exec_lo
	s_and_not1_b32 s30, s1, exec_lo
	s_or_b32 s36, s31, s36
; %bb.220:                              ;   in Loop: Header=BB7_201 Depth=2
	s_or_b32 exec_lo, exec_lo, s2
	s_mov_b32 s2, -1
	s_mov_b32 s37, -1
	s_and_saveexec_b32 s31, s36
	s_cbranch_execz .LBB7_197
; %bb.221:                              ;   in Loop: Header=BB7_201 Depth=2
	v_lshl_add_u32 v3, v12, 2, 0x410
	v_lshl_add_u32 v4, v11, 2, 0x410
	;; [unrolled: 1-line block ×3, first 2 shown]
	s_mov_b32 s36, -1
	s_mov_b32 s38, exec_lo
	s_clause 0x1
	scratch_load_b32 v3, v3, off
	scratch_load_b32 v4, v4, off
	s_waitcnt vmcnt(0)
	v_max_i32_e32 v3, v3, v4
	s_delay_alu instid0(VALU_DEP_1)
	v_add_nc_u32_e32 v4, 1, v3
	scratch_store_b32 v5, v4, off
	v_cmpx_gt_i32_e32 0x3b9aca00, v3
	s_cbranch_execz .LBB7_196
; %bb.222:                              ;   in Loop: Header=BB7_201 Depth=2
	v_lshl_add_u32 v3, v10, 2, 16
	v_add_nc_u32_e32 v10, 1, v10
	s_xor_b32 s37, exec_lo, -1
	scratch_store_b32 v3, v7, off
	v_cmp_ge_i32_e32 vcc_lo, v10, v9
	s_or_not1_b32 s36, vcc_lo, exec_lo
	s_branch .LBB7_196
.LBB7_223:                              ;   in Loop: Header=BB7_15 Depth=1
	s_or_b32 exec_lo, exec_lo, s11
	v_mov_b32_e32 v3, 0
	s_mov_b32 s28, 0
	s_mov_b32 s0, 0
	s_and_saveexec_b32 s1, s10
	s_delay_alu instid0(SALU_CYCLE_1)
	s_xor_b32 s1, exec_lo, s1
; %bb.224:                              ;   in Loop: Header=BB7_15 Depth=1
	v_mov_b32_e32 v3, v0
	s_mov_b32 s0, exec_lo
	s_and_b32 s28, s9, exec_lo
; %bb.225:                              ;   in Loop: Header=BB7_15 Depth=1
	s_or_b32 exec_lo, exec_lo, s1
	v_readlane_b32 s1, v110, 13
	s_and_b32 s2, s8, exec_lo
	v_readlane_b32 s3, v110, 11
	s_and_b32 s4, s25, exec_lo
	v_readlane_b32 s5, v109, 17
	s_and_not1_b32 s1, s1, exec_lo
	v_readlane_b32 s40, v109, 13
	s_or_b32 s33, s1, s2
	v_readlane_b32 s1, v110, 12
	s_and_b32 s2, s7, exec_lo
	s_and_not1_b32 s3, s3, exec_lo
	s_and_b32 s29, s5, exec_lo
	s_or_b32 s26, s3, s4
	s_and_not1_b32 s1, s1, exec_lo
	v_readlane_b32 s3, v109, 7
	s_or_b32 s34, s1, s2
	v_readlane_b32 s1, v110, 17
	s_and_b32 s2, vcc_hi, exec_lo
	s_and_b32 s4, s55, exec_lo
	s_and_not1_b32 s3, s3, exec_lo
	s_and_b32 s30, s31, exec_lo
	s_and_not1_b32 s1, s1, exec_lo
	s_or_b32 s24, s3, s4
	s_or_b32 s27, s1, s2
	v_readlane_b32 s1, v109, 6
	v_readlane_b32 s3, v109, 5
	s_and_b32 s2, s54, exec_lo
	s_and_b32 s4, s52, exec_lo
	;; [unrolled: 1-line block ×3, first 2 shown]
	s_and_not1_b32 s1, s1, exec_lo
	s_and_not1_b32 s3, s3, exec_lo
	s_or_b32 s25, s1, s2
	s_or_b32 s22, s3, s4
	v_readlane_b32 s1, v109, 4
	v_readlane_b32 s3, v109, 3
	s_and_b32 s2, s51, exec_lo
	s_and_b32 s4, s50, exec_lo
	s_or_not1_b32 s28, s28, exec_lo
	s_and_not1_b32 s1, s1, exec_lo
	s_and_not1_b32 s3, s3, exec_lo
	s_or_b32 s23, s1, s2
	s_or_b32 s20, s3, s4
	v_readlane_b32 s1, v109, 2
	v_readlane_b32 s3, v109, 1
	s_and_b32 s2, s49, exec_lo
	s_and_b32 s4, s48, exec_lo
	s_delay_alu instid0(VALU_DEP_2) | instskip(NEXT) | instid1(VALU_DEP_1)
	s_and_not1_b32 s1, s1, exec_lo
	s_and_not1_b32 s3, s3, exec_lo
	s_or_b32 s21, s1, s2
	s_or_b32 s18, s3, s4
	v_readlane_b32 s1, v109, 0
	v_readlane_b32 s3, v110, 31
	s_and_b32 s2, s47, exec_lo
	s_and_b32 s4, s46, exec_lo
	s_delay_alu instid0(VALU_DEP_2) | instskip(NEXT) | instid1(VALU_DEP_1)
	;; [unrolled: 9-line block ×4, first 2 shown]
	s_and_not1_b32 s1, s1, exec_lo
	s_and_not1_b32 s3, s3, exec_lo
	s_or_b32 s15, s1, s2
	s_or_b32 s12, s3, s4
	v_readlane_b32 s1, v110, 26
	v_readlane_b32 s2, v109, 26
	v_readlane_b32 s3, v110, 25
	v_readlane_b32 s4, v109, 25
	s_delay_alu instid0(VALU_DEP_4) | instskip(NEXT) | instid1(VALU_DEP_3)
	s_and_not1_b32 s1, s1, exec_lo
	s_and_b32 s2, s2, exec_lo
	s_delay_alu instid0(VALU_DEP_2) | instskip(NEXT) | instid1(VALU_DEP_1)
	s_and_not1_b32 s3, s3, exec_lo
	s_and_b32 s4, s4, exec_lo
	s_or_b32 s13, s1, s2
	s_or_b32 s10, s3, s4
	v_readlane_b32 s1, v110, 24
	v_readlane_b32 s2, v109, 24
	v_readlane_b32 s3, v110, 23
	v_readlane_b32 s4, v109, 23
	s_delay_alu instid0(VALU_DEP_4) | instskip(NEXT) | instid1(VALU_DEP_3)
	s_and_not1_b32 s1, s1, exec_lo
	s_and_b32 s2, s2, exec_lo
	s_delay_alu instid0(VALU_DEP_2) | instskip(NEXT) | instid1(VALU_DEP_1)
	s_and_not1_b32 s3, s3, exec_lo
	s_and_b32 s4, s4, exec_lo
	;; [unrolled: 12-line block ×4, first 2 shown]
	s_or_b32 s7, s1, s2
	s_or_b32 s4, s3, s4
	v_readlane_b32 s1, v110, 18
	v_readlane_b32 s2, v109, 18
	;; [unrolled: 1-line block ×3, first 2 shown]
	s_delay_alu instid0(VALU_DEP_3) | instskip(NEXT) | instid1(VALU_DEP_2)
	s_and_not1_b32 s1, s1, exec_lo
	s_and_b32 s2, s2, exec_lo
	s_delay_alu instid0(VALU_DEP_1)
	s_and_not1_b32 s3, s3, exec_lo
	s_or_b32 s5, s1, s2
	s_or_b32 s1, s3, s29
	v_readlane_b32 s3, v109, 16
	v_readlane_b32 s29, v109, 9
	s_and_not1_b32 s2, s40, exec_lo
	s_delay_alu instid0(VALU_DEP_2) | instskip(NEXT) | instid1(VALU_DEP_1)
	s_and_b32 s3, s3, exec_lo
	s_and_not1_b32 s29, s29, exec_lo
	s_or_b32 s3, s2, s3
	s_or_b32 s2, s29, s30
	v_readlane_b32 s30, v109, 12
.LBB7_226:                              ;   in Loop: Header=BB7_15 Depth=1
	s_delay_alu instid0(VALU_DEP_1)
	s_or_b32 exec_lo, exec_lo, s30
	s_and_saveexec_b32 s29, s28
	s_cbranch_execz .LBB7_228
; %bb.227:                              ;   in Loop: Header=BB7_15 Depth=1
	v_lshl_add_u32 v0, v9, 2, v74
	v_mov_b32_e32 v5, v3
	s_or_b32 s0, s0, exec_lo
	scratch_load_b32 v75, v0, off
.LBB7_228:                              ;   in Loop: Header=BB7_15 Depth=1
	s_or_b32 exec_lo, exec_lo, s29
	v_readlane_b32 s28, v110, 13
	v_readlane_b32 s30, v110, 12
	s_and_b32 s29, s33, exec_lo
	s_and_b32 s31, s34, exec_lo
	;; [unrolled: 1-line block ×3, first 2 shown]
	s_and_not1_b32 s28, s28, exec_lo
	s_and_not1_b32 s30, s30, exec_lo
	s_or_b32 s29, s28, s29
	v_readlane_b32 s28, v110, 11
	s_or_b32 s30, s30, s31
	v_readlane_b32 s31, v110, 17
	s_and_b32 s27, s27, exec_lo
	s_and_b32 s24, s24, exec_lo
	s_and_not1_b32 s28, s28, exec_lo
	s_and_b32 s25, s25, exec_lo
	s_and_not1_b32 s33, s31, exec_lo
	s_or_b32 s31, s28, s26
	v_readlane_b32 s26, v109, 7
	v_readlane_b32 s28, v109, 6
	s_or_b32 s27, s33, s27
	s_and_b32 s22, s22, exec_lo
	s_and_b32 s23, s23, exec_lo
	s_and_not1_b32 s26, s26, exec_lo
	s_and_not1_b32 s33, s28, exec_lo
	s_or_b32 s28, s26, s24
	v_readlane_b32 s24, v109, 5
	v_readlane_b32 s26, v109, 4
	s_or_b32 s25, s33, s25
	s_and_b32 s20, s20, exec_lo
	s_and_b32 s21, s21, exec_lo
	s_and_not1_b32 s24, s24, exec_lo
	s_and_not1_b32 s33, s26, exec_lo
	s_or_b32 s26, s24, s22
	v_readlane_b32 s22, v109, 3
	s_or_b32 s55, s33, s23
	v_readlane_b32 s23, v109, 2
	s_and_b32 s18, s18, exec_lo
	s_and_b32 s19, s19, exec_lo
	s_and_not1_b32 s22, s22, exec_lo
	s_and_b32 s16, s16, exec_lo
	s_or_b32 vcc_hi, s22, s20
	v_readlane_b32 s20, v109, 1
	s_and_not1_b32 s23, s23, exec_lo
	s_and_b32 s17, s17, exec_lo
	s_or_b32 s52, s23, s21
	v_readlane_b32 s21, v109, 0
	s_and_not1_b32 s20, s20, exec_lo
	s_and_b32 s14, s14, exec_lo
	s_or_b32 s54, s20, s18
	;; [unrolled: 4-line block ×17, first 2 shown]
	s_and_not1_b32 s5, s40, exec_lo
	s_and_not1_b32 s4, s4, exec_lo
	s_delay_alu instid0(SALU_CYCLE_1) | instskip(SKIP_3) | instid1(VALU_DEP_2)
	s_or_b32 s100, s4, s1
	s_or_b32 s1, s5, s3
	v_readlane_b32 s3, v109, 9
	v_readlane_b32 s4, v109, 11
	s_and_not1_b32 s3, s3, exec_lo
	s_delay_alu instid0(VALU_DEP_1)
	s_and_not1_b32 s4, s4, exec_lo
	s_or_b32 s2, s3, s2
	s_or_b32 s4, s4, s0
.LBB7_229:                              ;   in Loop: Header=BB7_15 Depth=1
	s_delay_alu instid0(VALU_DEP_1) | instskip(NEXT) | instid1(VALU_DEP_1)
	v_readlane_b32 s0, v109, 8
	s_or_b32 exec_lo, exec_lo, s0
	s_mov_b32 s0, -1
	s_and_saveexec_b32 s41, s4
	s_cbranch_execz .LBB7_3
; %bb.230:                              ;   in Loop: Header=BB7_15 Depth=1
	v_ashrrev_i32_e32 v0, 31, v78
	s_mov_b32 s3, exec_lo
	v_cmpx_lt_i32_e32 -1, v5
	s_cbranch_execz .LBB7_242
; %bb.231:                              ;   in Loop: Header=BB7_15 Depth=1
	v_mov_b32_e32 v3, 1
	s_mov_b32 s4, exec_lo
	v_cmpx_ne_u32_e32 -1, v78
	s_cbranch_execz .LBB7_241
; %bb.232:                              ;   in Loop: Header=BB7_15 Depth=1
	s_mov_b32 s5, exec_lo
	v_cmpx_ge_i32_e64 v5, v78
	s_cbranch_execz .LBB7_238
; %bb.233:                              ;   in Loop: Header=BB7_15 Depth=1
	s_mov_b32 s0, 0
	s_mov_b32 s6, exec_lo
	v_cmpx_eq_u32_e64 v5, v78
	s_cbranch_execz .LBB7_237
; %bb.234:                              ;   in Loop: Header=BB7_15 Depth=1
	s_mov_b32 s8, 0
	s_mov_b32 s9, 2
	s_mov_b32 s7, exec_lo
	v_cmpx_gt_u64_e64 s[8:9], v[1:2]
; %bb.235:                              ;   in Loop: Header=BB7_15 Depth=1
	v_lshrrev_b32_e32 v3, 1, v1
	v_and_b32_e32 v1, 1, v1
	s_delay_alu instid0(VALU_DEP_2) | instskip(NEXT) | instid1(VALU_DEP_2)
	v_cmp_eq_u32_e32 vcc_lo, v3, v2
	v_cmp_eq_u32_e64 s0, v1, v2
	s_delay_alu instid0(VALU_DEP_1) | instskip(NEXT) | instid1(SALU_CYCLE_1)
	s_and_b32 s0, vcc_lo, s0
	s_and_b32 s0, s0, exec_lo
; %bb.236:                              ;   in Loop: Header=BB7_15 Depth=1
	s_or_b32 exec_lo, exec_lo, s7
	s_waitcnt vmcnt(0)
	v_cmp_lt_i32_e32 vcc_lo, v75, v76
	s_or_b32 s0, s0, vcc_lo
	s_delay_alu instid0(SALU_CYCLE_1)
	s_and_b32 s0, s0, exec_lo
.LBB7_237:                              ;   in Loop: Header=BB7_15 Depth=1
	s_or_b32 exec_lo, exec_lo, s6
	s_delay_alu instid0(SALU_CYCLE_1)
	s_or_not1_b32 s0, s0, exec_lo
.LBB7_238:                              ;   in Loop: Header=BB7_15 Depth=1
	s_or_b32 exec_lo, exec_lo, s5
	s_and_saveexec_b32 s5, s0
; %bb.239:                              ;   in Loop: Header=BB7_15 Depth=1
	v_mov_b32_e32 v0, 1
; %bb.240:                              ;   in Loop: Header=BB7_15 Depth=1
	s_or_b32 exec_lo, exec_lo, s5
	s_delay_alu instid0(VALU_DEP_1)
	v_mov_b32_e32 v3, v0
.LBB7_241:                              ;   in Loop: Header=BB7_15 Depth=1
	s_or_b32 exec_lo, exec_lo, s4
	s_delay_alu instid0(VALU_DEP_1)
	v_mov_b32_e32 v0, v3
.LBB7_242:                              ;   in Loop: Header=BB7_15 Depth=1
	s_or_b32 exec_lo, exec_lo, s3
	s_delay_alu instid0(VALU_DEP_1)
	v_cmp_ne_u32_e32 vcc_lo, -1, v0
	s_mov_b32 s61, 0
	s_mov_b32 s0, s2
	;; [unrolled: 1-line block ×21, first 2 shown]
	s_mov_b32 s22, vcc_hi
	s_mov_b32 s33, s55
	s_mov_b32 s24, s26
	;; [unrolled: 1-line block ×8, first 2 shown]
	s_and_saveexec_b32 s3, vcc_lo
	s_delay_alu instid0(SALU_CYCLE_1)
	s_xor_b32 s3, exec_lo, s3
	s_cbranch_execnz .LBB7_245
; %bb.243:                              ;   in Loop: Header=BB7_15 Depth=1
	s_and_not1_saveexec_b32 s3, s3
	s_cbranch_execnz .LBB7_265
.LBB7_244:                              ;   in Loop: Header=BB7_15 Depth=1
	s_or_b32 exec_lo, exec_lo, s3
	s_mov_b32 s3, -1
	s_and_saveexec_b32 s64, s61
	s_cbranch_execz .LBB7_2
	s_branch .LBB7_266
.LBB7_245:                              ;   in Loop: Header=BB7_15 Depth=1
	s_mov_b32 s0, 0x9018
	v_cmp_eq_u32_e32 vcc_lo, 0, v0
	s_clause 0x1
	scratch_load_b32 v2, off, s0
	scratch_load_b32 v3, off, s0 offset:2056
	v_readlane_b32 s64, v123, 17
	v_readlane_b32 s70, v123, 23
	;; [unrolled: 1-line block ×6, first 2 shown]
	v_add_co_u32 v1, s0, s70, v92
	v_readlane_b32 s68, v123, 21
	v_readlane_b32 s69, v123, 22
	s_mov_b32 s16, -1
	s_mov_b32 s5, 0
	s_mov_b32 s64, 0
	;; [unrolled: 1-line block ×28, first 2 shown]
	s_mov_b32 s4, exec_lo
	v_writelane_b32 v109, s36, 27
	s_waitcnt vmcnt(0)
	v_cndmask_b32_e32 v5, v3, v2, vcc_lo
	v_add_co_ci_u32_e64 v2, s0, s71, v93, s0
	s_delay_alu instid0(VALU_DEP_2)
	v_sub_nc_u32_e32 v0, v5, v58
	global_store_b32 v[1:2], v0, off
	v_cmpx_lt_i32_e32 0, v0
	s_cbranch_execz .LBB7_264
; %bb.246:                              ;   in Loop: Header=BB7_15 Depth=1
	v_readlane_b32 s8, v123, 17
	v_readlane_b32 s12, v123, 21
	;; [unrolled: 1-line block ×3, first 2 shown]
	s_mov_b32 s6, -1
	s_mov_b32 s22, 0
	s_mov_b32 s24, 0
	v_add_co_u32 v0, s0, s12, v92
	s_delay_alu instid0(VALU_DEP_1)
	v_add_co_ci_u32_e64 v1, s0, s13, v93, s0
	s_mov_b32 s33, 0
	s_mov_b32 s34, 0
	;; [unrolled: 1-line block ×3, first 2 shown]
	global_load_b32 v2, v[0:1], off
	s_mov_b32 s57, 0
	s_mov_b32 s58, 0
	;; [unrolled: 1-line block ×13, first 2 shown]
	s_mov_b32 s5, exec_lo
	v_readlane_b32 s9, v123, 18
	v_readlane_b32 s10, v123, 19
	;; [unrolled: 1-line block ×5, first 2 shown]
	s_waitcnt vmcnt(0)
	v_cmpx_eq_u32_e32 -1, v2
	s_cbranch_execz .LBB7_263
; %bb.247:                              ;   in Loop: Header=BB7_15 Depth=1
	v_cmp_gt_i32_e64 s0, v5, v58
	s_mov_b32 s7, -1
	s_mov_b32 s8, 0
	s_mov_b32 s9, 0
	;; [unrolled: 1-line block ×9, first 2 shown]
	s_mov_b32 s64, -1
	global_store_b32 v[0:1], v72, off
	s_and_saveexec_b32 s6, s0
	s_cbranch_execz .LBB7_262
; %bb.248:                              ;   in Loop: Header=BB7_15 Depth=1
	v_cndmask_b32_e32 v0, v62, v61, vcc_lo
	s_mov_b32 s93, s41
                                        ; implicit-def: $sgpr64
                                        ; implicit-def: $sgpr65
                                        ; implicit-def: $sgpr59
                                        ; implicit-def: $sgpr61
                                        ; implicit-def: $sgpr57
                                        ; implicit-def: $sgpr58
                                        ; implicit-def: $sgpr34
                                        ; implicit-def: $sgpr35
                                        ; implicit-def: $sgpr24
                                        ; implicit-def: $sgpr33
                                        ; implicit-def: $sgpr22
                                        ; implicit-def: $sgpr23
                                        ; implicit-def: $sgpr20
                                        ; implicit-def: $sgpr21
                                        ; implicit-def: $sgpr18
                                        ; implicit-def: $sgpr19
                                        ; implicit-def: $sgpr16
                                        ; implicit-def: $sgpr17
                                        ; implicit-def: $sgpr14
                                        ; implicit-def: $sgpr15
                                        ; implicit-def: $sgpr12
                                        ; implicit-def: $sgpr13
                                        ; implicit-def: $sgpr10
                                        ; implicit-def: $sgpr11
                                        ; implicit-def: $sgpr8
                                        ; implicit-def: $sgpr9
                                        ; implicit-def: $sgpr0
                                        ; implicit-def: $sgpr7
                                        ; implicit-def: $sgpr66
                                        ; implicit-def: $sgpr67
                                        ; implicit-def: $sgpr68
                                        ; implicit-def: $sgpr69
	s_delay_alu instid0(VALU_DEP_1)
	v_lshl_add_u32 v6, v58, 3, v0
	v_mov_b32_e32 v0, v88
	s_branch .LBB7_250
.LBB7_249:                              ;   in Loop: Header=BB7_250 Depth=2
	s_or_b32 exec_lo, exec_lo, s73
	s_xor_b32 s72, s91, -1
	s_and_b32 s73, exec_lo, s85
	s_delay_alu instid0(SALU_CYCLE_1)
	s_or_b32 s60, s73, s60
	s_and_not1_b32 s67, s67, exec_lo
	s_and_b32 s73, s69, exec_lo
	s_and_not1_b32 s7, s7, exec_lo
	s_and_b32 s72, s72, exec_lo
	s_or_b32 s67, s67, s73
	s_and_not1_b32 s0, s0, exec_lo
	s_and_b32 s73, s71, exec_lo
	s_or_b32 s7, s7, s72
	;; [unrolled: 3-line block ×24, first 2 shown]
	s_and_not1_b32 s61, s61, exec_lo
	s_and_b32 s72, s71, exec_lo
	s_and_not1_b32 s66, s66, exec_lo
	s_and_b32 s74, s68, exec_lo
	s_or_b32 s57, s57, s73
	s_and_not1_b32 s59, s59, exec_lo
	s_and_b32 s73, s71, exec_lo
	s_or_b32 s61, s61, s72
	s_and_not1_b32 s65, s65, exec_lo
	s_and_b32 s72, s71, exec_lo
	s_and_not1_b32 s64, s64, exec_lo
	s_and_b32 s71, s71, exec_lo
	s_or_b32 s66, s66, s74
	s_or_b32 s59, s59, s73
	;; [unrolled: 1-line block ×4, first 2 shown]
	s_and_not1_b32 exec_lo, exec_lo, s60
	s_cbranch_execz .LBB7_261
.LBB7_250:                              ;   Parent Loop BB7_15 Depth=1
                                        ; =>  This Inner Loop Header: Depth=2
	s_cmp_lg_u32 s70, 8
	s_mov_b32 s85, -1
	s_cbranch_scc1 .LBB7_258
; %bb.251:                              ;   in Loop: Header=BB7_250 Depth=2
	s_mov_b32 s71, exec_lo
	s_mov_b32 s70, exec_lo
	v_mbcnt_lo_u32_b32 v1, s71, 0
                                        ; implicit-def: $vgpr2
	s_delay_alu instid0(VALU_DEP_1)
	v_cmpx_eq_u32_e32 0, v1
	s_cbranch_execz .LBB7_253
; %bb.252:                              ;   in Loop: Header=BB7_250 Depth=2
	s_bcnt1_i32_b32 s71, s71
	v_readlane_b32 s36, v123, 25
	v_mov_b32_e32 v2, s71
	v_readlane_b32 s37, v123, 26
	v_readlane_b32 s38, v123, 27
	v_readlane_b32 s39, v123, 28
	global_atomic_add_u32 v2, v72, v2, s[36:37] glc
.LBB7_253:                              ;   in Loop: Header=BB7_250 Depth=2
	s_or_b32 exec_lo, exec_lo, s70
	s_waitcnt vmcnt(0)
	v_readfirstlane_b32 s70, v2
	v_readlane_b32 s36, v122, 1
	s_mov_b32 s71, 0
	s_mov_b32 s91, -1
	s_mov_b32 s72, 0
	v_add_nc_u32_e32 v2, s70, v1
	s_mov_b32 s73, 0
	s_mov_b32 s74, -1
	s_mov_b32 s87, exec_lo
                                        ; implicit-def: $sgpr70
	s_delay_alu instid0(VALU_DEP_1)
	v_cmpx_gt_i32_e64 s36, v2
	s_cbranch_execz .LBB7_257
; %bb.254:                              ;   in Loop: Header=BB7_250 Depth=2
	v_ashrrev_i32_e32 v3, 31, v2
	s_mov_b32 s92, s40
	v_readlane_b32 s36, v123, 17
	v_readlane_b32 s40, v123, 21
	;; [unrolled: 1-line block ×3, first 2 shown]
	v_lshlrev_b64 v[3:4], 2, v[2:3]
	s_mov_b32 s73, exec_lo
	v_readlane_b32 s37, v123, 18
	v_readlane_b32 s38, v123, 19
	;; [unrolled: 1-line block ×4, first 2 shown]
	v_add_co_u32 v3, vcc_lo, s40, v3
	v_add_co_ci_u32_e32 v4, vcc_lo, s41, v4, vcc_lo
	v_readlane_b32 s43, v123, 24
                                        ; implicit-def: $sgpr70
	global_load_b32 v1, v[3:4], off
	s_waitcnt vmcnt(0)
	v_cmpx_eq_u32_e32 -1, v1
	s_cbranch_execz .LBB7_256
; %bb.255:                              ;   in Loop: Header=BB7_250 Depth=2
	v_ashrrev_i32_e32 v1, 31, v0
	v_readlane_b32 s36, v123, 17
	v_readlane_b32 s40, v123, 21
	;; [unrolled: 1-line block ×3, first 2 shown]
	s_mov_b32 s72, exec_lo
	v_lshlrev_b64 v[0:1], 2, v[0:1]
	s_mov_b32 s70, 0
	v_readlane_b32 s37, v123, 18
	v_readlane_b32 s38, v123, 19
	;; [unrolled: 1-line block ×4, first 2 shown]
	v_add_co_u32 v0, vcc_lo, s40, v0
	v_add_co_ci_u32_e32 v1, vcc_lo, s41, v1, vcc_lo
	v_readlane_b32 s43, v123, 24
	s_clause 0x1
	global_store_b32 v[0:1], v2, off
	global_store_b32 v[3:4], v72, off
.LBB7_256:                              ;   in Loop: Header=BB7_250 Depth=2
	s_or_b32 exec_lo, exec_lo, s73
	v_mov_b32_e32 v0, v2
	s_mov_b32 s73, exec_lo
	s_xor_b32 s74, exec_lo, -1
	s_and_b32 s72, s72, exec_lo
	s_mov_b32 s40, s92
	s_mov_b32 s41, s93
.LBB7_257:                              ;   in Loop: Header=BB7_250 Depth=2
	s_or_b32 exec_lo, exec_lo, s87
	s_branch .LBB7_259
.LBB7_258:                              ;   in Loop: Header=BB7_250 Depth=2
	s_mov_b32 s72, -1
                                        ; implicit-def: $sgpr73
                                        ; implicit-def: $sgpr74
                                        ; implicit-def: $sgpr91
                                        ; implicit-def: $sgpr71
.LBB7_259:                              ;   in Loop: Header=BB7_250 Depth=2
	s_and_not1_b32 s69, s69, exec_lo
	s_and_b32 s74, s74, exec_lo
	s_and_not1_b32 s68, s68, exec_lo
	s_and_b32 s73, s73, exec_lo
	s_or_b32 s69, s69, s74
	s_or_b32 s68, s68, s73
	s_and_saveexec_b32 s73, s72
	s_cbranch_execz .LBB7_249
; %bb.260:                              ;   in Loop: Header=BB7_250 Depth=2
	scratch_load_b64 v[1:2], v6, off
	v_lshl_add_u32 v3, v0, 3, s70
	s_mov_b32 s72, s40
	v_readlane_b32 s36, v123, 17
	v_readlane_b32 s38, v123, 19
	;; [unrolled: 1-line block ×3, first 2 shown]
	v_ashrrev_i32_e32 v4, 31, v3
	v_add_nc_u32_e32 v58, 1, v58
	v_add_nc_u32_e32 v6, 8, v6
	v_readlane_b32 s40, v123, 21
	v_readlane_b32 s41, v123, 22
	v_lshlrev_b64 v[3:4], 3, v[3:4]
	s_add_i32 s70, s70, 1
	s_mov_b32 s41, s93
	s_mov_b32 s40, s72
	s_and_not1_b32 s91, s91, exec_lo
	s_and_not1_b32 s69, s69, exec_lo
	v_add_co_u32 v3, vcc_lo, s38, v3
	v_add_co_ci_u32_e32 v4, vcc_lo, s39, v4, vcc_lo
	v_cmp_ge_i32_e32 vcc_lo, v58, v5
	s_and_not1_b32 s68, s68, exec_lo
	v_readlane_b32 s37, v123, 18
	v_readlane_b32 s42, v123, 23
	;; [unrolled: 1-line block ×3, first 2 shown]
	s_or_not1_b32 s85, vcc_lo, exec_lo
	s_waitcnt vmcnt(0)
	global_store_b64 v[3:4], v[1:2], off
	s_branch .LBB7_249
.LBB7_261:                              ;   in Loop: Header=BB7_15 Depth=1
	s_or_b32 exec_lo, exec_lo, s60
	s_delay_alu instid0(SALU_CYCLE_1)
	s_and_b32 s69, s64, exec_lo
	s_and_b32 s68, s65, exec_lo
	;; [unrolled: 1-line block ×4, first 2 shown]
	s_or_not1_b32 s64, s59, exec_lo
	s_and_b32 s60, s61, exec_lo
	s_and_b32 s59, s57, exec_lo
	s_and_b32 s58, s58, exec_lo
	s_and_b32 s57, s34, exec_lo
	s_and_b32 s35, s35, exec_lo
	s_and_b32 s34, s24, exec_lo
	s_and_b32 s33, s33, exec_lo
	s_and_b32 s24, s22, exec_lo
	s_and_b32 s23, s23, exec_lo
	s_and_b32 s22, s20, exec_lo
	s_and_b32 s21, s21, exec_lo
	s_and_b32 s20, s18, exec_lo
	s_and_b32 s19, s19, exec_lo
	s_and_b32 s18, s16, exec_lo
	s_and_b32 s17, s17, exec_lo
	s_and_b32 s16, s14, exec_lo
	s_and_b32 s15, s15, exec_lo
	s_and_b32 s14, s12, exec_lo
	s_and_b32 s13, s13, exec_lo
	s_and_b32 s12, s10, exec_lo
	s_and_b32 s11, s11, exec_lo
	s_and_b32 s10, s8, exec_lo
	s_and_b32 s9, s9, exec_lo
	s_and_b32 s8, s0, exec_lo
	s_or_not1_b32 s7, s7, exec_lo
.LBB7_262:                              ;   in Loop: Header=BB7_15 Depth=1
	s_or_b32 exec_lo, exec_lo, s6
	s_delay_alu instid0(SALU_CYCLE_1)
	s_and_b32 s96, s69, exec_lo
	s_and_b32 s95, s68, exec_lo
	;; [unrolled: 1-line block ×4, first 2 shown]
	s_or_not1_b32 s6, s64, exec_lo
	s_and_b32 s36, s60, exec_lo
	s_and_b32 s69, s59, exec_lo
	;; [unrolled: 1-line block ×25, first 2 shown]
.LBB7_263:                              ;   in Loop: Header=BB7_15 Depth=1
	s_or_b32 exec_lo, exec_lo, s5
	s_delay_alu instid0(SALU_CYCLE_1)
	s_and_b32 s97, s96, exec_lo
	s_and_b32 s96, s95, exec_lo
	s_and_b32 s95, s93, exec_lo
	s_and_b32 s93, s74, exec_lo
	s_and_b32 s74, s6, exec_lo
	s_or_not1_b32 s16, s36, exec_lo
	s_and_b32 s69, s69, exec_lo
	s_and_b32 s68, s68, exec_lo
	;; [unrolled: 1-line block ×24, first 2 shown]
.LBB7_264:                              ;   in Loop: Header=BB7_15 Depth=1
	s_or_b32 exec_lo, exec_lo, s4
	s_delay_alu instid0(SALU_CYCLE_1)
	s_and_not1_b32 s0, s29, exec_lo
	s_and_b32 s4, s97, exec_lo
	s_and_not1_b32 s22, s31, exec_lo
	s_or_b32 s58, s0, s4
	s_and_not1_b32 s0, s30, exec_lo
	s_and_b32 s4, s96, exec_lo
	s_and_b32 s24, s95, exec_lo
	s_or_b32 s60, s0, s4
	s_or_b32 s57, s22, s24
	s_and_not1_b32 s0, s27, exec_lo
	s_and_b32 s4, s93, exec_lo
	s_and_not1_b32 s22, s28, exec_lo
	s_and_b32 s24, s74, exec_lo
	s_or_b32 s59, s0, s4
	s_or_b32 s34, s22, s24
	s_and_not1_b32 s0, s25, exec_lo
	s_and_b32 s4, s16, exec_lo
	s_and_not1_b32 s16, s26, exec_lo
	s_and_b32 s22, s69, exec_lo
	s_or_b32 s35, s0, s4
	s_or_b32 s24, s16, s22
	s_and_not1_b32 s0, s55, exec_lo
	s_and_b32 s4, s68, exec_lo
	s_and_not1_b32 s16, vcc_hi, exec_lo
	s_and_b32 s22, s67, exec_lo
	s_or_b32 s33, s0, s4
	s_or_b32 s22, s16, s22
	s_and_not1_b32 s0, s52, exec_lo
	s_and_b32 s4, s23, exec_lo
	s_and_not1_b32 s16, s54, exec_lo
	s_and_b32 s20, s20, exec_lo
	s_or_b32 s23, s0, s4
	s_or_b32 s20, s16, s20
	s_and_not1_b32 s0, s50, exec_lo
	s_and_b32 s4, s21, exec_lo
	s_and_not1_b32 s16, s51, exec_lo
	s_and_b32 s18, s18, exec_lo
	s_or_b32 s21, s0, s4
	s_or_b32 s18, s16, s18
	s_and_not1_b32 s0, s48, exec_lo
	s_and_b32 s4, s66, exec_lo
	s_and_not1_b32 s16, s49, exec_lo
	s_and_b32 s66, s19, exec_lo
	v_readlane_b32 s36, v109, 27
	s_or_b32 s19, s0, s4
	s_or_b32 s16, s16, s66
	s_and_not1_b32 s0, s46, exec_lo
	s_and_b32 s4, s17, exec_lo
	s_and_not1_b32 s66, s47, exec_lo
	s_and_b32 s14, s14, exec_lo
	s_or_b32 s17, s0, s4
	s_or_b32 s14, s66, s14
	s_and_not1_b32 s0, s44, exec_lo
	s_and_b32 s4, s15, exec_lo
	s_and_not1_b32 s66, s45, exec_lo
	s_and_b32 s12, s12, exec_lo
	s_or_b32 s15, s0, s4
	s_or_b32 s12, s66, s12
	s_and_not1_b32 s0, s94, exec_lo
	s_and_b32 s4, s13, exec_lo
	s_and_not1_b32 s66, s36, exec_lo
	s_and_b32 s10, s10, exec_lo
	s_or_b32 s13, s0, s4
	s_or_b32 s10, s66, s10
	s_and_not1_b32 s0, s103, exec_lo
	s_and_b32 s4, s11, exec_lo
	s_and_not1_b32 s66, s104, exec_lo
	s_and_b32 s8, s8, exec_lo
	s_or_b32 s11, s0, s4
	s_or_b32 s8, s66, s8
	s_and_not1_b32 s0, s101, exec_lo
	s_and_b32 s4, s9, exec_lo
	s_and_not1_b32 s66, s102, exec_lo
	s_and_b32 s6, s6, exec_lo
	s_or_b32 s9, s0, s4
	s_or_b32 s6, s66, s6
	s_and_not1_b32 s0, s99, exec_lo
	s_and_b32 s4, s65, exec_lo
	s_and_not1_b32 s65, s100, exec_lo
	s_and_b32 s66, s7, exec_lo
	s_or_b32 s7, s0, s4
	s_or_b32 s4, s65, s66
	s_and_not1_b32 s0, s1, exec_lo
	s_and_b32 s64, s64, exec_lo
	s_and_not1_b32 s65, s2, exec_lo
	s_and_b32 s66, s5, exec_lo
	s_or_b32 s5, s0, s64
	s_or_b32 s0, s65, s66
	s_and_b32 s61, s61, exec_lo
                                        ; implicit-def: $vgpr92_vgpr93
	s_and_not1_saveexec_b32 s3, s3
	s_cbranch_execz .LBB7_244
.LBB7_265:                              ;   in Loop: Header=BB7_15 Depth=1
	v_readlane_b32 s64, v123, 17
	v_readlane_b32 s70, v123, 23
	;; [unrolled: 1-line block ×3, first 2 shown]
	s_or_b32 s61, s61, exec_lo
	v_readlane_b32 s65, v123, 18
	v_readlane_b32 s66, v123, 19
	v_add_co_u32 v0, vcc_lo, s70, v92
	v_add_co_ci_u32_e32 v1, vcc_lo, s71, v93, vcc_lo
	v_readlane_b32 s67, v123, 20
	v_readlane_b32 s68, v123, 21
	;; [unrolled: 1-line block ×3, first 2 shown]
	global_store_b32 v[0:1], v72, off
	s_or_b32 exec_lo, exec_lo, s3
	s_mov_b32 s3, -1
	s_and_saveexec_b32 s64, s61
	s_cbranch_execz .LBB7_2
.LBB7_266:                              ;   in Loop: Header=BB7_15 Depth=1
	v_readlane_b32 s3, v122, 4
	s_and_not1_b32 s58, s58, exec_lo
	s_or_b32 s60, s60, exec_lo
	s_and_not1_b32 s57, s57, exec_lo
	s_and_not1_b32 s59, s59, exec_lo
	v_add_nc_u32_e32 v88, s3, v88
	v_readlane_b32 s3, v123, 30
	s_and_not1_b32 s34, s34, exec_lo
	s_and_not1_b32 s35, s35, exec_lo
	;; [unrolled: 1-line block ×4, first 2 shown]
	v_cmp_le_i32_e32 vcc_lo, s3, v88
	s_and_not1_b32 s22, s22, exec_lo
	s_and_not1_b32 s23, s23, exec_lo
	;; [unrolled: 1-line block ×21, first 2 shown]
	s_or_not1_b32 s3, vcc_lo, exec_lo
	s_branch .LBB7_2
.LBB7_267:
	s_or_b32 exec_lo, exec_lo, s84
	s_mov_b32 s1, -1
	s_xor_b32 s0, s88, -1
	s_mov_b32 s2, 0
	s_mov_b32 s3, 0
	;; [unrolled: 1-line block ×28, first 2 shown]
	s_and_saveexec_b32 s17, s86
	v_readlane_b32 s48, v123, 4
	s_cbranch_execz .LBB7_327
; %bb.268:
	s_mov_b32 s3, -1
	s_mov_b32 s8, 0
	s_mov_b32 s19, 0
	;; [unrolled: 1-line block ×5, first 2 shown]
	s_and_saveexec_b32 s18, s63
	s_cbranch_execz .LBB7_326
; %bb.269:
	s_mov_b32 s2, -1
	s_mov_b32 s1, 0
	s_and_saveexec_b32 s19, s62
	s_cbranch_execz .LBB7_325
; %bb.270:
	s_and_saveexec_b32 s20, s83
	s_cbranch_execz .LBB7_324
; %bb.271:
	;; [unrolled: 3-line block ×11, first 2 shown]
	s_mov_b32 s34, exec_lo
	v_readlane_b32 s2, v122, 25
	s_delay_alu instid0(VALU_DEP_1) | instskip(NEXT) | instid1(SALU_CYCLE_1)
	s_and_b32 s2, s34, s2
	s_mov_b32 exec_lo, s2
	s_cbranch_execz .LBB7_314
; %bb.281:
	s_mov_b32 s2, -1
	s_mov_b32 s35, exec_lo
	v_readlane_b32 s3, v122, 24
	s_delay_alu instid0(VALU_DEP_1) | instskip(NEXT) | instid1(SALU_CYCLE_1)
	s_and_b32 s3, s35, s3
	s_mov_b32 exec_lo, s3
	s_cbranch_execz .LBB7_313
; %bb.282:
	s_mov_b32 s3, -1
	;; [unrolled: 8-line block ×13, first 2 shown]
	s_mov_b32 s3, 0
	s_mov_b32 s47, exec_lo
	v_readlane_b32 s4, v122, 12
	s_delay_alu instid0(VALU_DEP_1) | instskip(NEXT) | instid1(SALU_CYCLE_1)
	s_and_b32 s4, s47, s4
	s_mov_b32 exec_lo, s4
	s_cbranch_execz .LBB7_301
; %bb.294:
	s_mov_b32 s1, -1
	s_mov_b32 s2, 0
	s_mov_b32 s3, exec_lo
	v_readlane_b32 s4, v122, 11
	s_delay_alu instid0(VALU_DEP_1) | instskip(NEXT) | instid1(SALU_CYCLE_1)
	s_and_b32 s4, s3, s4
	s_xor_b32 s48, s4, s3
	s_mov_b32 exec_lo, s4
	s_cbranch_execz .LBB7_300
; %bb.295:
	s_and_saveexec_b32 s1, s0
	s_delay_alu instid0(SALU_CYCLE_1)
	s_xor_b32 s49, exec_lo, s1
	s_cbranch_execz .LBB7_297
; %bb.296:
	v_readlane_b32 s0, v123, 0
	v_readlane_b32 s1, v123, 1
	s_delay_alu instid0(VALU_DEP_2) | instskip(NEXT) | instid1(VALU_DEP_1)
	s_add_u32 s8, s0, 0x80
	s_addc_u32 s9, s1, 0
	s_getpc_b64 s[0:1]
	s_add_u32 s0, s0, .str.15@rel32@lo+4
	s_addc_u32 s1, s1, .str.15@rel32@hi+12
	s_getpc_b64 s[2:3]
	s_add_u32 s2, s2, .str.16@rel32@lo+4
	s_addc_u32 s3, s3, .str.16@rel32@hi+12
	s_getpc_b64 s[4:5]
	s_add_u32 s4, s4, __PRETTY_FUNCTION__._ZN3sop10minatoIsopEPKjiP7VecsMemIjLi8192EE@rel32@lo+4
	s_addc_u32 s5, s5, __PRETTY_FUNCTION__._ZN3sop10minatoIsopEPKjiP7VecsMemIjLi8192EE@rel32@hi+12
	v_dual_mov_b32 v0, s0 :: v_dual_mov_b32 v1, s1
	v_dual_mov_b32 v2, s2 :: v_dual_mov_b32 v3, s3
	;; [unrolled: 1-line block ×3, first 2 shown]
	s_waitcnt vmcnt(0)
	v_mov_b32_e32 v6, s5
	s_getpc_b64 s[6:7]
	s_add_u32 s6, s6, __assert_fail@rel32@lo+4
	s_addc_u32 s7, s7, __assert_fail@rel32@hi+12
	s_delay_alu instid0(SALU_CYCLE_1)
	s_swappc_b64 s[30:31], s[6:7]
.LBB7_297:
	s_and_not1_saveexec_b32 s49, s49
	s_cbranch_execz .LBB7_299
; %bb.298:
	v_readlane_b32 s0, v123, 0
	v_readlane_b32 s1, v123, 1
	s_delay_alu instid0(VALU_DEP_2) | instskip(NEXT) | instid1(VALU_DEP_1)
	s_add_u32 s8, s0, 0x80
	s_addc_u32 s9, s1, 0
	s_getpc_b64 s[0:1]
	s_add_u32 s0, s0, .str.15@rel32@lo+4
	s_addc_u32 s1, s1, .str.15@rel32@hi+12
	s_getpc_b64 s[2:3]
	s_add_u32 s2, s2, .str.16@rel32@lo+4
	s_addc_u32 s3, s3, .str.16@rel32@hi+12
	s_getpc_b64 s[4:5]
	s_add_u32 s4, s4, __PRETTY_FUNCTION__._ZN3sop10minatoIsopEPKjiP7VecsMemIjLi8192EE@rel32@lo+4
	s_addc_u32 s5, s5, __PRETTY_FUNCTION__._ZN3sop10minatoIsopEPKjiP7VecsMemIjLi8192EE@rel32@hi+12
	v_dual_mov_b32 v0, s0 :: v_dual_mov_b32 v1, s1
	v_dual_mov_b32 v2, s2 :: v_dual_mov_b32 v3, s3
	;; [unrolled: 1-line block ×3, first 2 shown]
	s_waitcnt vmcnt(0)
	v_mov_b32_e32 v6, s5
	s_getpc_b64 s[6:7]
	s_add_u32 s6, s6, __assert_fail@rel32@lo+4
	s_addc_u32 s7, s7, __assert_fail@rel32@hi+12
	s_delay_alu instid0(SALU_CYCLE_1)
	s_swappc_b64 s[30:31], s[6:7]
.LBB7_299:
	s_or_b32 exec_lo, exec_lo, s49
	s_delay_alu instid0(SALU_CYCLE_1)
	s_mov_b32 s2, exec_lo
	s_xor_b32 s1, exec_lo, -1
.LBB7_300:
	s_or_b32 exec_lo, exec_lo, s48
	s_delay_alu instid0(SALU_CYCLE_1)
	s_and_b32 s3, s2, exec_lo
	s_xor_b32 s2, exec_lo, -1
	s_and_b32 s1, s1, exec_lo
.LBB7_301:
	s_or_b32 exec_lo, exec_lo, s47
	s_delay_alu instid0(SALU_CYCLE_1)
	s_and_b32 s4, s3, exec_lo
	s_xor_b32 s3, exec_lo, -1
	s_and_b32 s6, s2, exec_lo
	s_and_b32 s1, s1, exec_lo
.LBB7_302:
	s_or_b32 exec_lo, exec_lo, s46
	s_delay_alu instid0(SALU_CYCLE_1)
	s_and_b32 s5, s4, exec_lo
	s_xor_b32 s2, exec_lo, -1
	s_and_b32 s4, s3, exec_lo
	s_and_b32 s6, s6, exec_lo
	;; [unrolled: 1-line block ×3, first 2 shown]
.LBB7_303:
	s_or_b32 exec_lo, exec_lo, s45
	s_delay_alu instid0(SALU_CYCLE_1)
	s_and_b32 s8, s5, exec_lo
	s_xor_b32 s3, exec_lo, -1
	s_and_b32 s5, s2, exec_lo
	s_and_b32 s4, s4, exec_lo
	;; [unrolled: 1-line block ×4, first 2 shown]
.LBB7_304:
	s_or_b32 exec_lo, exec_lo, s44
	s_delay_alu instid0(SALU_CYCLE_1)
	s_and_b32 s9, s8, exec_lo
	s_xor_b32 s2, exec_lo, -1
	s_and_b32 s6, s3, exec_lo
	s_and_b32 s5, s5, exec_lo
	;; [unrolled: 1-line block ×5, first 2 shown]
.LBB7_305:
	s_or_b32 exec_lo, exec_lo, s43
	s_delay_alu instid0(SALU_CYCLE_1)
	s_and_b32 s9, s9, exec_lo
	s_xor_b32 s3, exec_lo, -1
	s_and_b32 s7, s2, exec_lo
	s_and_b32 s6, s6, exec_lo
	;; [unrolled: 1-line block ×6, first 2 shown]
.LBB7_306:
	s_or_b32 exec_lo, exec_lo, s42
	s_delay_alu instid0(SALU_CYCLE_1)
	s_and_b32 s10, s9, exec_lo
	s_xor_b32 s2, exec_lo, -1
	s_and_b32 s9, s3, exec_lo
	s_and_b32 s7, s7, exec_lo
	;; [unrolled: 1-line block ×7, first 2 shown]
.LBB7_307:
	s_or_b32 exec_lo, exec_lo, s41
	s_delay_alu instid0(SALU_CYCLE_1)
	s_and_b32 s11, s10, exec_lo
	s_xor_b32 s3, exec_lo, -1
	s_and_b32 s10, s2, exec_lo
	s_and_b32 s9, s9, exec_lo
	;; [unrolled: 1-line block ×8, first 2 shown]
.LBB7_308:
	s_or_b32 exec_lo, exec_lo, s40
	s_delay_alu instid0(SALU_CYCLE_1)
	s_and_b32 s12, s11, exec_lo
	s_xor_b32 s2, exec_lo, -1
	s_and_b32 s11, s3, exec_lo
	s_and_b32 s10, s10, exec_lo
	;; [unrolled: 1-line block ×9, first 2 shown]
.LBB7_309:
	s_or_b32 exec_lo, exec_lo, s39
	s_delay_alu instid0(SALU_CYCLE_1)
	s_and_b32 s13, s12, exec_lo
	s_xor_b32 s3, exec_lo, -1
	s_and_b32 s12, s2, exec_lo
	s_and_b32 s11, s11, exec_lo
	;; [unrolled: 1-line block ×10, first 2 shown]
.LBB7_310:
	s_or_b32 exec_lo, exec_lo, s38
	s_delay_alu instid0(SALU_CYCLE_1)
	s_and_b32 s14, s13, exec_lo
	s_xor_b32 s2, exec_lo, -1
	s_and_b32 s13, s3, exec_lo
	s_and_b32 s12, s12, exec_lo
	;; [unrolled: 1-line block ×11, first 2 shown]
.LBB7_311:
	s_or_b32 exec_lo, exec_lo, s37
	s_delay_alu instid0(SALU_CYCLE_1)
	s_and_b32 s15, s14, exec_lo
	s_xor_b32 s3, exec_lo, -1
	s_and_b32 s14, s2, exec_lo
	s_and_b32 s13, s13, exec_lo
	s_and_b32 s12, s12, exec_lo
	s_and_b32 s11, s11, exec_lo
	s_and_b32 s10, s10, exec_lo
	s_and_b32 s9, s9, exec_lo
	s_and_b32 s7, s7, exec_lo
	s_and_b32 s6, s6, exec_lo
	s_and_b32 s5, s5, exec_lo
	s_and_b32 s4, s4, exec_lo
	s_and_b32 s8, s8, exec_lo
	s_and_b32 s1, s1, exec_lo
.LBB7_312:
	s_or_b32 exec_lo, exec_lo, s36
	s_delay_alu instid0(SALU_CYCLE_1)
	s_and_b32 s16, s15, exec_lo
	s_xor_b32 s2, exec_lo, -1
	s_and_b32 s15, s3, exec_lo
	s_and_b32 s14, s14, exec_lo
	;; [unrolled: 1-line block ×13, first 2 shown]
.LBB7_313:
	s_or_b32 exec_lo, exec_lo, s35
	s_delay_alu instid0(SALU_CYCLE_1)
	s_and_b32 s30, s16, exec_lo
	s_xor_b32 s3, exec_lo, -1
	s_and_b32 s16, s2, exec_lo
	s_and_b32 s15, s15, exec_lo
	;; [unrolled: 1-line block ×14, first 2 shown]
.LBB7_314:
	s_or_b32 exec_lo, exec_lo, s34
	v_readlane_b32 s48, v123, 4
	s_and_b32 s30, s30, exec_lo
	s_xor_b32 s2, exec_lo, -1
	s_and_b32 s33, s3, exec_lo
	s_and_b32 s16, s16, exec_lo
	;; [unrolled: 1-line block ×15, first 2 shown]
.LBB7_315:
	s_or_b32 exec_lo, exec_lo, s29
	s_delay_alu instid0(SALU_CYCLE_1)
	s_and_b32 s31, s30, exec_lo
	s_xor_b32 s3, exec_lo, -1
	s_and_b32 s30, s2, exec_lo
	s_and_b32 s29, s33, exec_lo
	;; [unrolled: 1-line block ×16, first 2 shown]
.LBB7_316:
	s_or_b32 exec_lo, exec_lo, s28
	s_delay_alu instid0(SALU_CYCLE_1)
	s_and_b32 s33, s31, exec_lo
	s_xor_b32 s2, exec_lo, -1
	s_and_b32 s28, s3, exec_lo
	s_and_b32 s30, s30, exec_lo
	;; [unrolled: 1-line block ×17, first 2 shown]
.LBB7_317:
	s_or_b32 exec_lo, exec_lo, s27
	s_delay_alu instid0(SALU_CYCLE_1)
	s_and_b32 s27, s33, exec_lo
	s_xor_b32 s3, exec_lo, -1
	s_and_b32 s29, s2, exec_lo
	s_and_b32 s28, s28, exec_lo
	;; [unrolled: 1-line block ×18, first 2 shown]
.LBB7_318:
	s_or_b32 exec_lo, exec_lo, s26
	s_delay_alu instid0(SALU_CYCLE_1)
	s_and_b32 s26, s27, exec_lo
	s_xor_b32 s2, exec_lo, -1
	s_and_b32 s27, s3, exec_lo
	s_and_b32 s29, s29, exec_lo
	;; [unrolled: 1-line block ×19, first 2 shown]
.LBB7_319:
	s_or_b32 exec_lo, exec_lo, s25
	s_delay_alu instid0(SALU_CYCLE_1)
	s_and_b32 s33, s26, exec_lo
	s_xor_b32 s3, exec_lo, -1
	s_and_b32 s26, s2, exec_lo
	s_and_b32 s27, s27, exec_lo
	;; [unrolled: 1-line block ×20, first 2 shown]
.LBB7_320:
	s_or_b32 exec_lo, exec_lo, s24
	s_delay_alu instid0(SALU_CYCLE_1)
	s_and_b32 s31, s33, exec_lo
	s_xor_b32 s2, exec_lo, -1
	s_and_b32 s33, s3, exec_lo
	s_and_b32 s26, s26, exec_lo
	;; [unrolled: 1-line block ×21, first 2 shown]
.LBB7_321:
	s_or_b32 exec_lo, exec_lo, s23
	s_delay_alu instid0(SALU_CYCLE_1)
	s_and_b32 s31, s31, exec_lo
	s_xor_b32 s3, exec_lo, -1
	s_and_b32 s30, s2, exec_lo
	s_and_b32 s33, s33, exec_lo
	;; [unrolled: 1-line block ×22, first 2 shown]
.LBB7_322:
	s_or_b32 exec_lo, exec_lo, s22
	s_delay_alu instid0(SALU_CYCLE_1)
	s_and_b32 s34, s31, exec_lo
	s_xor_b32 s2, exec_lo, -1
	s_and_b32 s31, s3, exec_lo
	s_and_b32 s30, s30, exec_lo
	;; [unrolled: 1-line block ×23, first 2 shown]
.LBB7_323:
	s_or_b32 exec_lo, exec_lo, s21
	s_delay_alu instid0(SALU_CYCLE_1)
	s_and_b32 s34, s34, exec_lo
	s_xor_b32 s3, exec_lo, -1
	s_and_b32 s29, s2, exec_lo
	s_and_b32 s33, s31, exec_lo
	;; [unrolled: 1-line block ×24, first 2 shown]
.LBB7_324:
	s_or_b32 exec_lo, exec_lo, s20
	s_delay_alu instid0(SALU_CYCLE_1)
	s_and_b32 s34, s34, exec_lo
	s_xor_b32 s2, exec_lo, -1
	s_and_b32 s30, s3, exec_lo
	s_and_b32 s29, s29, exec_lo
	;; [unrolled: 1-line block ×25, first 2 shown]
.LBB7_325:
	s_or_b32 exec_lo, exec_lo, s19
	s_delay_alu instid0(SALU_CYCLE_1)
	s_and_b32 s34, s34, exec_lo
	s_xor_b32 s3, exec_lo, -1
	s_and_b32 s31, s2, exec_lo
	s_and_b32 s30, s30, exec_lo
	;; [unrolled: 1-line block ×26, first 2 shown]
.LBB7_326:
	s_or_b32 exec_lo, exec_lo, s18
	s_delay_alu instid0(SALU_CYCLE_1)
	s_and_b32 s18, s34, exec_lo
	s_xor_b32 s1, exec_lo, -1
	s_and_b32 s36, s3, exec_lo
	s_and_b32 s35, s31, exec_lo
	;; [unrolled: 1-line block ×27, first 2 shown]
.LBB7_327:
	s_or_b32 exec_lo, exec_lo, s17
	s_delay_alu instid0(SALU_CYCLE_1)
	s_and_b32 s17, s18, exec_lo
	s_and_b32 s18, s1, exec_lo
	;; [unrolled: 1-line block ×28, first 2 shown]
	s_or_not1_b32 s4, s2, exec_lo
.LBB7_328:
	s_or_b32 exec_lo, exec_lo, s48
	s_and_saveexec_b32 s0, s4
	s_delay_alu instid0(SALU_CYCLE_1) | instskip(SKIP_1) | instid1(SALU_CYCLE_1)
	s_or_b32 exec_lo, exec_lo, s0
	s_and_saveexec_b32 s0, s6
	s_xor_b32 s48, exec_lo, s0
	s_cbranch_execnz .LBB7_362
; %bb.329:
	s_or_b32 exec_lo, exec_lo, s48
	s_and_saveexec_b32 s0, s47
	s_delay_alu instid0(SALU_CYCLE_1)
	s_xor_b32 s47, exec_lo, s0
	s_cbranch_execnz .LBB7_363
.LBB7_330:
	s_or_b32 exec_lo, exec_lo, s47
	s_and_saveexec_b32 s0, s46
	s_delay_alu instid0(SALU_CYCLE_1)
	s_xor_b32 s46, exec_lo, s0
	s_cbranch_execnz .LBB7_364
.LBB7_331:
	s_or_b32 exec_lo, exec_lo, s46
	s_and_saveexec_b32 s0, s45
	s_delay_alu instid0(SALU_CYCLE_1)
	s_xor_b32 s45, exec_lo, s0
	s_cbranch_execnz .LBB7_365
.LBB7_332:
	s_or_b32 exec_lo, exec_lo, s45
	s_and_saveexec_b32 s0, s44
	s_delay_alu instid0(SALU_CYCLE_1)
	s_xor_b32 s44, exec_lo, s0
	s_cbranch_execnz .LBB7_366
.LBB7_333:
	s_or_b32 exec_lo, exec_lo, s44
	s_and_saveexec_b32 s0, s43
	s_delay_alu instid0(SALU_CYCLE_1)
	s_xor_b32 s43, exec_lo, s0
	s_cbranch_execnz .LBB7_367
.LBB7_334:
	s_or_b32 exec_lo, exec_lo, s43
	s_and_saveexec_b32 s0, s42
	s_delay_alu instid0(SALU_CYCLE_1)
	s_xor_b32 s42, exec_lo, s0
	s_cbranch_execnz .LBB7_368
.LBB7_335:
	s_or_b32 exec_lo, exec_lo, s42
	s_and_saveexec_b32 s42, s41
	s_cbranch_execnz .LBB7_369
.LBB7_336:
	s_or_b32 exec_lo, exec_lo, s42
	s_and_saveexec_b32 s0, s39
	s_delay_alu instid0(SALU_CYCLE_1)
	s_xor_b32 s39, exec_lo, s0
	s_cbranch_execnz .LBB7_370
.LBB7_337:
	s_or_b32 exec_lo, exec_lo, s39
	s_and_saveexec_b32 s39, s40
	s_cbranch_execnz .LBB7_371
.LBB7_338:
	s_or_b32 exec_lo, exec_lo, s39
	s_and_saveexec_b32 s0, s38
	s_delay_alu instid0(SALU_CYCLE_1)
	s_xor_b32 s38, exec_lo, s0
	s_cbranch_execnz .LBB7_715
.LBB7_339:
	s_or_b32 exec_lo, exec_lo, s38
	s_and_saveexec_b32 s0, s37
	s_delay_alu instid0(SALU_CYCLE_1)
	s_xor_b32 s37, exec_lo, s0
	s_cbranch_execnz .LBB7_716
.LBB7_340:
	s_or_b32 exec_lo, exec_lo, s37
	s_and_saveexec_b32 s0, s36
	s_delay_alu instid0(SALU_CYCLE_1)
	s_xor_b32 s36, exec_lo, s0
	s_cbranch_execz .LBB7_342
.LBB7_341:
	v_readlane_b32 s0, v123, 0
	v_readlane_b32 s1, v123, 1
	s_delay_alu instid0(VALU_DEP_2) | instskip(NEXT) | instid1(VALU_DEP_1)
	s_add_u32 s8, s0, 0x80
	s_addc_u32 s9, s1, 0
	s_getpc_b64 s[0:1]
	s_add_u32 s0, s0, .str.17@rel32@lo+4
	s_addc_u32 s1, s1, .str.17@rel32@hi+12
	s_getpc_b64 s[2:3]
	s_add_u32 s2, s2, .str.16@rel32@lo+4
	s_addc_u32 s3, s3, .str.16@rel32@hi+12
	s_getpc_b64 s[4:5]
	s_add_u32 s4, s4, __PRETTY_FUNCTION__._ZN3sop10minatoIsopEPKjiP7VecsMemIjLi8192EE@rel32@lo+4
	s_addc_u32 s5, s5, __PRETTY_FUNCTION__._ZN3sop10minatoIsopEPKjiP7VecsMemIjLi8192EE@rel32@hi+12
	v_dual_mov_b32 v0, s0 :: v_dual_mov_b32 v1, s1
	v_dual_mov_b32 v2, s2 :: v_dual_mov_b32 v3, s3
	;; [unrolled: 1-line block ×3, first 2 shown]
	s_waitcnt vmcnt(0)
	v_mov_b32_e32 v6, s5
	s_getpc_b64 s[6:7]
	s_add_u32 s6, s6, __assert_fail@rel32@lo+4
	s_addc_u32 s7, s7, __assert_fail@rel32@hi+12
	s_delay_alu instid0(SALU_CYCLE_1)
	s_swappc_b64 s[30:31], s[6:7]
	s_or_b32 s17, s17, exec_lo
.LBB7_342:
	s_or_b32 exec_lo, exec_lo, s36
	s_and_saveexec_b32 s36, s35
	s_cbranch_execnz .LBB7_393
; %bb.343:
	s_or_b32 exec_lo, exec_lo, s36
	s_and_saveexec_b32 s0, s34
	s_delay_alu instid0(SALU_CYCLE_1)
	s_xor_b32 s34, exec_lo, s0
	s_cbranch_execnz .LBB7_746
.LBB7_344:
	s_or_b32 exec_lo, exec_lo, s34
	s_and_saveexec_b32 s0, s29
	s_delay_alu instid0(SALU_CYCLE_1)
	s_xor_b32 s29, exec_lo, s0
	s_cbranch_execz .LBB7_346
.LBB7_345:
	v_readlane_b32 s0, v123, 0
	v_readlane_b32 s1, v123, 1
	s_delay_alu instid0(VALU_DEP_2) | instskip(NEXT) | instid1(VALU_DEP_1)
	s_add_u32 s8, s0, 0x80
	s_addc_u32 s9, s1, 0
	s_getpc_b64 s[0:1]
	s_add_u32 s0, s0, .str.2@rel32@lo+4
	s_addc_u32 s1, s1, .str.2@rel32@hi+12
	s_getpc_b64 s[2:3]
	s_add_u32 s2, s2, .str.1@rel32@lo+4
	s_addc_u32 s3, s3, .str.1@rel32@hi+12
	s_getpc_b64 s[4:5]
	s_add_u32 s4, s4, __PRETTY_FUNCTION__._Z12evaluateSubgiPiPKiiiiS1_PKyPKjiPKN8subgUtil4SubgILi256EEE@rel32@lo+4
	s_addc_u32 s5, s5, __PRETTY_FUNCTION__._Z12evaluateSubgiPiPKiiiiS1_PKyPKjiPKN8subgUtil4SubgILi256EEE@rel32@hi+12
	v_dual_mov_b32 v0, s0 :: v_dual_mov_b32 v1, s1
	v_dual_mov_b32 v2, s2 :: v_dual_mov_b32 v3, s3
	v_dual_mov_b32 v4, 38 :: v_dual_mov_b32 v5, s4
	s_waitcnt vmcnt(0)
	v_mov_b32_e32 v6, s5
	s_getpc_b64 s[6:7]
	s_add_u32 s6, s6, __assert_fail@rel32@lo+4
	s_addc_u32 s7, s7, __assert_fail@rel32@hi+12
	s_delay_alu instid0(SALU_CYCLE_1)
	s_swappc_b64 s[30:31], s[6:7]
	s_or_b32 s17, s17, exec_lo
.LBB7_346:
	s_or_b32 exec_lo, exec_lo, s29
	s_and_saveexec_b32 s0, s28
	s_delay_alu instid0(SALU_CYCLE_1)
	s_xor_b32 s28, exec_lo, s0
	s_cbranch_execz .LBB7_348
; %bb.347:
	v_readlane_b32 s0, v123, 0
	v_readlane_b32 s1, v123, 1
	s_delay_alu instid0(VALU_DEP_2) | instskip(NEXT) | instid1(VALU_DEP_1)
	s_add_u32 s8, s0, 0x80
	s_addc_u32 s9, s1, 0
	s_getpc_b64 s[0:1]
	s_add_u32 s0, s0, .str@rel32@lo+4
	s_addc_u32 s1, s1, .str@rel32@hi+12
	s_getpc_b64 s[2:3]
	s_add_u32 s2, s2, .str.1@rel32@lo+4
	s_addc_u32 s3, s3, .str.1@rel32@hi+12
	s_getpc_b64 s[4:5]
	s_add_u32 s4, s4, __PRETTY_FUNCTION__._Z12evaluateSubgiPiPKiiiiS1_PKyPKjiPKN8subgUtil4SubgILi256EEE@rel32@lo+4
	s_addc_u32 s5, s5, __PRETTY_FUNCTION__._Z12evaluateSubgiPiPKiiiiS1_PKyPKjiPKN8subgUtil4SubgILi256EEE@rel32@hi+12
	v_dual_mov_b32 v0, s0 :: v_dual_mov_b32 v1, s1
	v_dual_mov_b32 v2, s2 :: v_dual_mov_b32 v3, s3
	v_dual_mov_b32 v4, 36 :: v_dual_mov_b32 v5, s4
	s_waitcnt vmcnt(0)
	v_mov_b32_e32 v6, s5
	s_getpc_b64 s[6:7]
	s_add_u32 s6, s6, __assert_fail@rel32@lo+4
	s_addc_u32 s7, s7, __assert_fail@rel32@hi+12
	s_delay_alu instid0(SALU_CYCLE_1)
	s_swappc_b64 s[30:31], s[6:7]
	s_or_b32 s17, s17, exec_lo
.LBB7_348:
	s_or_b32 exec_lo, exec_lo, s28
	s_and_saveexec_b32 s0, s27
	s_delay_alu instid0(SALU_CYCLE_1)
	s_xor_b32 s27, exec_lo, s0
	s_cbranch_execz .LBB7_350
; %bb.349:
	v_readlane_b32 s0, v123, 0
	v_readlane_b32 s1, v123, 1
	s_delay_alu instid0(VALU_DEP_2) | instskip(NEXT) | instid1(VALU_DEP_1)
	s_add_u32 s8, s0, 0x80
	s_addc_u32 s9, s1, 0
	s_getpc_b64 s[0:1]
	s_add_u32 s0, s0, .str.46@rel32@lo+4
	s_addc_u32 s1, s1, .str.46@rel32@hi+12
	s_getpc_b64 s[2:3]
	s_add_u32 s2, s2, .str.44@rel32@lo+4
	s_addc_u32 s3, s3, .str.44@rel32@hi+12
	s_getpc_b64 s[4:5]
	s_add_u32 s4, s4, __PRETTY_FUNCTION__._ZN8subgUtil18formAndNodeKeyFlagEiii@rel32@lo+4
	s_addc_u32 s5, s5, __PRETTY_FUNCTION__._ZN8subgUtil18formAndNodeKeyFlagEiii@rel32@hi+12
	v_dual_mov_b32 v0, s0 :: v_dual_mov_b32 v1, s1
	v_dual_mov_b32 v2, s2 :: v_dual_mov_b32 v3, s3
	;; [unrolled: 1-line block ×3, first 2 shown]
	s_waitcnt vmcnt(0)
	v_mov_b32_e32 v6, s5
	s_getpc_b64 s[6:7]
	s_add_u32 s6, s6, __assert_fail@rel32@lo+4
	s_addc_u32 s7, s7, __assert_fail@rel32@hi+12
	s_delay_alu instid0(SALU_CYCLE_1)
	s_swappc_b64 s[30:31], s[6:7]
	s_or_b32 s17, s17, exec_lo
.LBB7_350:
	s_or_b32 exec_lo, exec_lo, s27
	s_and_saveexec_b32 s0, s26
	s_delay_alu instid0(SALU_CYCLE_1)
	s_xor_b32 s26, exec_lo, s0
	s_cbranch_execz .LBB7_352
; %bb.351:
	v_readlane_b32 s0, v123, 0
	v_readlane_b32 s1, v123, 1
	s_delay_alu instid0(VALU_DEP_2) | instskip(NEXT) | instid1(VALU_DEP_1)
	s_add_u32 s8, s0, 0x80
	s_addc_u32 s9, s1, 0
	s_getpc_b64 s[0:1]
	s_add_u32 s0, s0, .str.32@rel32@lo+4
	s_addc_u32 s1, s1, .str.32@rel32@hi+12
	s_getpc_b64 s[2:3]
	s_add_u32 s2, s2, .str.31@rel32@lo+4
	s_addc_u32 s3, s3, .str.31@rel32@hi+12
	s_getpc_b64 s[4:5]
	s_add_u32 s4, s4, __PRETTY_FUNCTION__._ZN3sop9sopFactorEPjiiPKiiP7VecsMemIjLi8192EEPN8subgUtil4SubgILi256EEE@rel32@lo+4
	s_addc_u32 s5, s5, __PRETTY_FUNCTION__._ZN3sop9sopFactorEPjiiPKiiP7VecsMemIjLi8192EEPN8subgUtil4SubgILi256EEE@rel32@hi+12
	v_dual_mov_b32 v0, s0 :: v_dual_mov_b32 v1, s1
	v_dual_mov_b32 v2, s2 :: v_dual_mov_b32 v3, s3
	;; [unrolled: 1-line block ×3, first 2 shown]
	s_waitcnt vmcnt(0)
	v_mov_b32_e32 v6, s5
	s_getpc_b64 s[6:7]
	s_add_u32 s6, s6, __assert_fail@rel32@lo+4
	s_addc_u32 s7, s7, __assert_fail@rel32@hi+12
	s_delay_alu instid0(SALU_CYCLE_1)
	s_swappc_b64 s[30:31], s[6:7]
	s_or_b32 s17, s17, exec_lo
.LBB7_352:
	s_or_b32 exec_lo, exec_lo, s26
	s_and_saveexec_b32 s26, s25
	s_cbranch_execnz .LBB7_415
; %bb.353:
	s_or_b32 exec_lo, exec_lo, s26
	s_and_saveexec_b32 s0, s24
	s_delay_alu instid0(SALU_CYCLE_1)
	s_xor_b32 s24, exec_lo, s0
	s_cbranch_execnz .LBB7_776
.LBB7_354:
	s_or_b32 exec_lo, exec_lo, s24
	s_and_saveexec_b32 s24, s23
	s_cbranch_execnz .LBB7_777
.LBB7_355:
	s_or_b32 exec_lo, exec_lo, s24
	s_and_saveexec_b32 s0, s22
	s_delay_alu instid0(SALU_CYCLE_1)
	s_xor_b32 s22, exec_lo, s0
	s_cbranch_execnz .LBB7_778
.LBB7_356:
	s_or_b32 exec_lo, exec_lo, s22
	s_and_saveexec_b32 s0, s21
	s_delay_alu instid0(SALU_CYCLE_1)
	s_xor_b32 s21, exec_lo, s0
	s_cbranch_execnz .LBB7_779
.LBB7_357:
	s_or_b32 exec_lo, exec_lo, s21
	s_and_saveexec_b32 s21, s20
	s_cbranch_execnz .LBB7_780
.LBB7_358:
	s_or_b32 exec_lo, exec_lo, s21
	s_and_saveexec_b32 s0, s19
	s_delay_alu instid0(SALU_CYCLE_1)
	s_xor_b32 s19, exec_lo, s0
	s_cbranch_execnz .LBB7_914
.LBB7_359:
	s_or_b32 exec_lo, exec_lo, s19
	s_and_saveexec_b32 s19, s18
	s_cbranch_execnz .LBB7_915
.LBB7_360:
	s_or_b32 exec_lo, exec_lo, s19
	s_and_saveexec_b32 s0, s17
	s_cbranch_execnz .LBB7_916
.LBB7_361:
	s_endpgm
.LBB7_362:
	v_readlane_b32 s0, v123, 0
	v_readlane_b32 s1, v123, 1
	s_delay_alu instid0(VALU_DEP_2) | instskip(NEXT) | instid1(VALU_DEP_1)
	s_add_u32 s8, s0, 0x80
	s_addc_u32 s9, s1, 0
	s_getpc_b64 s[0:1]
	s_add_u32 s0, s0, .str.11@rel32@lo+4
	s_addc_u32 s1, s1, .str.11@rel32@hi+12
	s_getpc_b64 s[2:3]
	s_add_u32 s2, s2, .str.1@rel32@lo+4
	s_addc_u32 s3, s3, .str.1@rel32@hi+12
	s_getpc_b64 s[4:5]
	s_add_u32 s4, s4, __PRETTY_FUNCTION__._Z8resynCutPKiS0_S0_S0_PKyPKjiS0_PyPiS6_S6_PjS0_S4_ii@rel32@lo+4
	s_addc_u32 s5, s5, __PRETTY_FUNCTION__._Z8resynCutPKiS0_S0_S0_PKyPKjiS0_PyPiS6_S6_PjS0_S4_ii@rel32@hi+12
	v_dual_mov_b32 v0, s0 :: v_dual_mov_b32 v1, s1
	v_dual_mov_b32 v2, s2 :: v_dual_mov_b32 v3, s3
	;; [unrolled: 1-line block ×3, first 2 shown]
	s_waitcnt vmcnt(0)
	v_mov_b32_e32 v6, s5
	s_getpc_b64 s[6:7]
	s_add_u32 s6, s6, __assert_fail@rel32@lo+4
	s_addc_u32 s7, s7, __assert_fail@rel32@hi+12
	s_delay_alu instid0(SALU_CYCLE_1) | instskip(SKIP_3) | instid1(SALU_CYCLE_1)
	s_swappc_b64 s[30:31], s[6:7]
	s_or_b32 s17, s17, exec_lo
	s_or_b32 exec_lo, exec_lo, s48
	s_and_saveexec_b32 s0, s47
	s_xor_b32 s47, exec_lo, s0
	s_cbranch_execz .LBB7_330
.LBB7_363:
	v_readlane_b32 s0, v123, 0
	v_readlane_b32 s1, v123, 1
	s_delay_alu instid0(VALU_DEP_2) | instskip(NEXT) | instid1(VALU_DEP_1)
	s_add_u32 s8, s0, 0x80
	s_addc_u32 s9, s1, 0
	s_getpc_b64 s[0:1]
	s_add_u32 s0, s0, .str.10@rel32@lo+4
	s_addc_u32 s1, s1, .str.10@rel32@hi+12
	s_getpc_b64 s[2:3]
	s_add_u32 s2, s2, .str.1@rel32@lo+4
	s_addc_u32 s3, s3, .str.1@rel32@hi+12
	s_getpc_b64 s[4:5]
	s_add_u32 s4, s4, __PRETTY_FUNCTION__._Z8resynCutPKiS0_S0_S0_PKyPKjiS0_PyPiS6_S6_PjS0_S4_ii@rel32@lo+4
	s_addc_u32 s5, s5, __PRETTY_FUNCTION__._Z8resynCutPKiS0_S0_S0_PKyPKjiS0_PyPiS6_S6_PjS0_S4_ii@rel32@hi+12
	v_dual_mov_b32 v0, s0 :: v_dual_mov_b32 v1, s1
	v_dual_mov_b32 v2, s2 :: v_dual_mov_b32 v3, s3
	;; [unrolled: 1-line block ×3, first 2 shown]
	s_waitcnt vmcnt(0)
	v_mov_b32_e32 v6, s5
	s_getpc_b64 s[6:7]
	s_add_u32 s6, s6, __assert_fail@rel32@lo+4
	s_addc_u32 s7, s7, __assert_fail@rel32@hi+12
	s_delay_alu instid0(SALU_CYCLE_1) | instskip(SKIP_3) | instid1(SALU_CYCLE_1)
	s_swappc_b64 s[30:31], s[6:7]
	s_or_b32 s17, s17, exec_lo
	s_or_b32 exec_lo, exec_lo, s47
	s_and_saveexec_b32 s0, s46
	s_xor_b32 s46, exec_lo, s0
	s_cbranch_execz .LBB7_331
.LBB7_364:
	v_readlane_b32 s0, v123, 0
	v_readlane_b32 s1, v123, 1
	s_delay_alu instid0(VALU_DEP_2) | instskip(NEXT) | instid1(VALU_DEP_1)
	s_add_u32 s8, s0, 0x80
	s_addc_u32 s9, s1, 0
	s_getpc_b64 s[0:1]
	s_add_u32 s0, s0, .str.9@rel32@lo+4
	s_addc_u32 s1, s1, .str.9@rel32@hi+12
	s_getpc_b64 s[2:3]
	s_add_u32 s2, s2, .str.1@rel32@lo+4
	s_addc_u32 s3, s3, .str.1@rel32@hi+12
	s_getpc_b64 s[4:5]
	s_add_u32 s4, s4, __PRETTY_FUNCTION__._Z8resynCutPKiS0_S0_S0_PKyPKjiS0_PyPiS6_S6_PjS0_S4_ii@rel32@lo+4
	s_addc_u32 s5, s5, __PRETTY_FUNCTION__._Z8resynCutPKiS0_S0_S0_PKyPKjiS0_PyPiS6_S6_PjS0_S4_ii@rel32@hi+12
	v_dual_mov_b32 v0, s0 :: v_dual_mov_b32 v1, s1
	v_dual_mov_b32 v2, s2 :: v_dual_mov_b32 v3, s3
	;; [unrolled: 1-line block ×3, first 2 shown]
	s_waitcnt vmcnt(0)
	v_mov_b32_e32 v6, s5
	s_getpc_b64 s[6:7]
	s_add_u32 s6, s6, __assert_fail@rel32@lo+4
	s_addc_u32 s7, s7, __assert_fail@rel32@hi+12
	s_delay_alu instid0(SALU_CYCLE_1) | instskip(SKIP_3) | instid1(SALU_CYCLE_1)
	s_swappc_b64 s[30:31], s[6:7]
	s_or_b32 s17, s17, exec_lo
	s_or_b32 exec_lo, exec_lo, s46
	s_and_saveexec_b32 s0, s45
	s_xor_b32 s45, exec_lo, s0
	s_cbranch_execz .LBB7_332
.LBB7_365:
	v_readlane_b32 s0, v123, 0
	v_readlane_b32 s1, v123, 1
	s_delay_alu instid0(VALU_DEP_2) | instskip(NEXT) | instid1(VALU_DEP_1)
	s_add_u32 s8, s0, 0x80
	s_addc_u32 s9, s1, 0
	s_getpc_b64 s[0:1]
	s_add_u32 s0, s0, .str.8@rel32@lo+4
	s_addc_u32 s1, s1, .str.8@rel32@hi+12
	s_getpc_b64 s[2:3]
	s_add_u32 s2, s2, .str.1@rel32@lo+4
	s_addc_u32 s3, s3, .str.1@rel32@hi+12
	s_getpc_b64 s[4:5]
	s_add_u32 s4, s4, __PRETTY_FUNCTION__._Z8resynCutPKiS0_S0_S0_PKyPKjiS0_PyPiS6_S6_PjS0_S4_ii@rel32@lo+4
	s_addc_u32 s5, s5, __PRETTY_FUNCTION__._Z8resynCutPKiS0_S0_S0_PKyPKjiS0_PyPiS6_S6_PjS0_S4_ii@rel32@hi+12
	v_dual_mov_b32 v0, s0 :: v_dual_mov_b32 v1, s1
	v_dual_mov_b32 v2, s2 :: v_dual_mov_b32 v3, s3
	v_dual_mov_b32 v4, 0xd7 :: v_dual_mov_b32 v5, s4
	s_waitcnt vmcnt(0)
	v_mov_b32_e32 v6, s5
	s_getpc_b64 s[6:7]
	s_add_u32 s6, s6, __assert_fail@rel32@lo+4
	s_addc_u32 s7, s7, __assert_fail@rel32@hi+12
	s_delay_alu instid0(SALU_CYCLE_1) | instskip(SKIP_3) | instid1(SALU_CYCLE_1)
	s_swappc_b64 s[30:31], s[6:7]
	s_or_b32 s17, s17, exec_lo
	s_or_b32 exec_lo, exec_lo, s45
	s_and_saveexec_b32 s0, s44
	s_xor_b32 s44, exec_lo, s0
	s_cbranch_execz .LBB7_333
.LBB7_366:
	v_readlane_b32 s0, v123, 0
	v_readlane_b32 s1, v123, 1
	s_delay_alu instid0(VALU_DEP_2) | instskip(NEXT) | instid1(VALU_DEP_1)
	s_add_u32 s8, s0, 0x80
	s_addc_u32 s9, s1, 0
	s_getpc_b64 s[0:1]
	s_add_u32 s0, s0, .str.2@rel32@lo+4
	s_addc_u32 s1, s1, .str.2@rel32@hi+12
	s_getpc_b64 s[2:3]
	s_add_u32 s2, s2, .str.1@rel32@lo+4
	s_addc_u32 s3, s3, .str.1@rel32@hi+12
	s_getpc_b64 s[4:5]
	s_add_u32 s4, s4, __PRETTY_FUNCTION__._Z12evaluateSubgiPiPKiiiiS1_PKyPKjiPKN8subgUtil4SubgILi256EEE@rel32@lo+4
	s_addc_u32 s5, s5, __PRETTY_FUNCTION__._Z12evaluateSubgiPiPKiiiiS1_PKyPKjiPKN8subgUtil4SubgILi256EEE@rel32@hi+12
	v_dual_mov_b32 v0, s0 :: v_dual_mov_b32 v1, s1
	v_dual_mov_b32 v2, s2 :: v_dual_mov_b32 v3, s3
	;; [unrolled: 1-line block ×3, first 2 shown]
	s_waitcnt vmcnt(0)
	v_mov_b32_e32 v6, s5
	s_getpc_b64 s[6:7]
	s_add_u32 s6, s6, __assert_fail@rel32@lo+4
	s_addc_u32 s7, s7, __assert_fail@rel32@hi+12
	s_delay_alu instid0(SALU_CYCLE_1) | instskip(SKIP_3) | instid1(SALU_CYCLE_1)
	s_swappc_b64 s[30:31], s[6:7]
	s_or_b32 s17, s17, exec_lo
	s_or_b32 exec_lo, exec_lo, s44
	s_and_saveexec_b32 s0, s43
	s_xor_b32 s43, exec_lo, s0
	s_cbranch_execz .LBB7_334
.LBB7_367:
	v_readlane_b32 s0, v123, 0
	v_readlane_b32 s1, v123, 1
	s_delay_alu instid0(VALU_DEP_2) | instskip(NEXT) | instid1(VALU_DEP_1)
	s_add_u32 s8, s0, 0x80
	s_addc_u32 s9, s1, 0
	s_getpc_b64 s[0:1]
	s_add_u32 s0, s0, .str@rel32@lo+4
	s_addc_u32 s1, s1, .str@rel32@hi+12
	s_getpc_b64 s[2:3]
	s_add_u32 s2, s2, .str.1@rel32@lo+4
	s_addc_u32 s3, s3, .str.1@rel32@hi+12
	s_getpc_b64 s[4:5]
	s_add_u32 s4, s4, __PRETTY_FUNCTION__._Z12evaluateSubgiPiPKiiiiS1_PKyPKjiPKN8subgUtil4SubgILi256EEE@rel32@lo+4
	s_addc_u32 s5, s5, __PRETTY_FUNCTION__._Z12evaluateSubgiPiPKiiiiS1_PKyPKjiPKN8subgUtil4SubgILi256EEE@rel32@hi+12
	v_dual_mov_b32 v0, s0 :: v_dual_mov_b32 v1, s1
	v_dual_mov_b32 v2, s2 :: v_dual_mov_b32 v3, s3
	v_dual_mov_b32 v4, 36 :: v_dual_mov_b32 v5, s4
	s_waitcnt vmcnt(0)
	v_mov_b32_e32 v6, s5
	s_getpc_b64 s[6:7]
	s_add_u32 s6, s6, __assert_fail@rel32@lo+4
	s_addc_u32 s7, s7, __assert_fail@rel32@hi+12
	s_delay_alu instid0(SALU_CYCLE_1) | instskip(SKIP_3) | instid1(SALU_CYCLE_1)
	s_swappc_b64 s[30:31], s[6:7]
	s_or_b32 s17, s17, exec_lo
	s_or_b32 exec_lo, exec_lo, s43
	s_and_saveexec_b32 s0, s42
	s_xor_b32 s42, exec_lo, s0
	s_cbranch_execz .LBB7_335
.LBB7_368:
	v_readlane_b32 s0, v123, 0
	v_readlane_b32 s1, v123, 1
	s_delay_alu instid0(VALU_DEP_2) | instskip(NEXT) | instid1(VALU_DEP_1)
	s_add_u32 s8, s0, 0x80
	s_addc_u32 s9, s1, 0
	s_getpc_b64 s[0:1]
	s_add_u32 s0, s0, .str.46@rel32@lo+4
	s_addc_u32 s1, s1, .str.46@rel32@hi+12
	s_getpc_b64 s[2:3]
	s_add_u32 s2, s2, .str.44@rel32@lo+4
	s_addc_u32 s3, s3, .str.44@rel32@hi+12
	s_getpc_b64 s[4:5]
	s_add_u32 s4, s4, __PRETTY_FUNCTION__._ZN8subgUtil18formAndNodeKeyFlagEiii@rel32@lo+4
	s_addc_u32 s5, s5, __PRETTY_FUNCTION__._ZN8subgUtil18formAndNodeKeyFlagEiii@rel32@hi+12
	v_dual_mov_b32 v0, s0 :: v_dual_mov_b32 v1, s1
	v_dual_mov_b32 v2, s2 :: v_dual_mov_b32 v3, s3
	;; [unrolled: 1-line block ×3, first 2 shown]
	s_waitcnt vmcnt(0)
	v_mov_b32_e32 v6, s5
	s_getpc_b64 s[6:7]
	s_add_u32 s6, s6, __assert_fail@rel32@lo+4
	s_addc_u32 s7, s7, __assert_fail@rel32@hi+12
	s_delay_alu instid0(SALU_CYCLE_1)
	s_swappc_b64 s[30:31], s[6:7]
	s_or_b32 s17, s17, exec_lo
	s_or_b32 exec_lo, exec_lo, s42
	s_and_saveexec_b32 s42, s41
	s_cbranch_execz .LBB7_336
.LBB7_369:
	v_readlane_b32 s0, v123, 0
	v_readlane_b32 s1, v123, 1
	s_delay_alu instid0(VALU_DEP_2) | instskip(NEXT) | instid1(VALU_DEP_1)
	s_add_u32 s8, s0, 0x80
	s_addc_u32 s9, s1, 0
	s_getpc_b64 s[0:1]
	s_add_u32 s0, s0, .str.32@rel32@lo+4
	s_addc_u32 s1, s1, .str.32@rel32@hi+12
	s_getpc_b64 s[2:3]
	s_add_u32 s2, s2, .str.31@rel32@lo+4
	s_addc_u32 s3, s3, .str.31@rel32@hi+12
	s_getpc_b64 s[4:5]
	s_add_u32 s4, s4, __PRETTY_FUNCTION__._ZN3sop9sopFactorEPjiiPKiiP7VecsMemIjLi8192EEPN8subgUtil4SubgILi256EEE@rel32@lo+4
	s_addc_u32 s5, s5, __PRETTY_FUNCTION__._ZN3sop9sopFactorEPjiiPKiiP7VecsMemIjLi8192EEPN8subgUtil4SubgILi256EEE@rel32@hi+12
	v_dual_mov_b32 v0, s0 :: v_dual_mov_b32 v1, s1
	v_dual_mov_b32 v2, s2 :: v_dual_mov_b32 v3, s3
	v_dual_mov_b32 v4, 0x21b :: v_dual_mov_b32 v5, s4
	s_waitcnt vmcnt(0)
	v_mov_b32_e32 v6, s5
	s_getpc_b64 s[6:7]
	s_add_u32 s6, s6, __assert_fail@rel32@lo+4
	s_addc_u32 s7, s7, __assert_fail@rel32@hi+12
	s_delay_alu instid0(SALU_CYCLE_1) | instskip(SKIP_3) | instid1(SALU_CYCLE_1)
	s_swappc_b64 s[30:31], s[6:7]
	s_or_b32 s17, s17, exec_lo
	s_or_b32 exec_lo, exec_lo, s42
	s_and_saveexec_b32 s0, s39
	s_xor_b32 s39, exec_lo, s0
	s_cbranch_execz .LBB7_337
.LBB7_370:
	v_readlane_b32 s0, v123, 0
	v_readlane_b32 s1, v123, 1
	s_delay_alu instid0(VALU_DEP_2) | instskip(NEXT) | instid1(VALU_DEP_1)
	s_add_u32 s8, s0, 0x80
	s_addc_u32 s9, s1, 0
	s_getpc_b64 s[0:1]
	s_add_u32 s0, s0, .str.46@rel32@lo+4
	s_addc_u32 s1, s1, .str.46@rel32@hi+12
	s_getpc_b64 s[2:3]
	s_add_u32 s2, s2, .str.44@rel32@lo+4
	s_addc_u32 s3, s3, .str.44@rel32@hi+12
	s_getpc_b64 s[4:5]
	s_add_u32 s4, s4, __PRETTY_FUNCTION__._ZN8subgUtil18formAndNodeKeyFlagEiii@rel32@lo+4
	s_addc_u32 s5, s5, __PRETTY_FUNCTION__._ZN8subgUtil18formAndNodeKeyFlagEiii@rel32@hi+12
	v_dual_mov_b32 v0, s0 :: v_dual_mov_b32 v1, s1
	v_dual_mov_b32 v2, s2 :: v_dual_mov_b32 v3, s3
	;; [unrolled: 1-line block ×3, first 2 shown]
	s_waitcnt vmcnt(0)
	v_mov_b32_e32 v6, s5
	s_getpc_b64 s[6:7]
	s_add_u32 s6, s6, __assert_fail@rel32@lo+4
	s_addc_u32 s7, s7, __assert_fail@rel32@hi+12
	s_delay_alu instid0(SALU_CYCLE_1)
	s_swappc_b64 s[30:31], s[6:7]
	s_or_b32 s17, s17, exec_lo
	s_or_b32 exec_lo, exec_lo, s39
	s_and_saveexec_b32 s39, s40
	s_cbranch_execz .LBB7_338
.LBB7_371:
	v_readlane_b32 s0, v123, 2
	v_readlane_b32 s1, v123, 3
	v_mbcnt_lo_u32_b32 v29, -1, 0
	s_waitcnt vmcnt(0)
	v_mov_b32_e32 v6, 0
	v_mov_b32_e32 v7, 0
	s_load_b64 s[2:3], s[0:1], 0x50
	v_readfirstlane_b32 s0, v29
	s_delay_alu instid0(VALU_DEP_1) | instskip(NEXT) | instid1(VALU_DEP_1)
	v_cmp_eq_u32_e64 s0, s0, v29
	s_and_saveexec_b32 s1, s0
	s_cbranch_execz .LBB7_377
; %bb.372:
	v_mov_b32_e32 v0, 0
	s_mov_b32 s4, exec_lo
	s_waitcnt lgkmcnt(0)
	global_load_b64 v[3:4], v0, s[2:3] offset:24 glc
	s_waitcnt vmcnt(0)
	buffer_gl1_inv
	buffer_gl0_inv
	s_clause 0x1
	global_load_b64 v[1:2], v0, s[2:3] offset:40
	global_load_b64 v[5:6], v0, s[2:3]
	s_waitcnt vmcnt(1)
	v_and_b32_e32 v1, v1, v3
	v_and_b32_e32 v2, v2, v4
	s_delay_alu instid0(VALU_DEP_2) | instskip(NEXT) | instid1(VALU_DEP_2)
	v_mul_hi_u32 v7, v1, 24
	v_mul_lo_u32 v2, v2, 24
	v_mul_lo_u32 v1, v1, 24
	s_delay_alu instid0(VALU_DEP_2) | instskip(SKIP_1) | instid1(VALU_DEP_2)
	v_add_nc_u32_e32 v2, v7, v2
	s_waitcnt vmcnt(0)
	v_add_co_u32 v1, vcc_lo, v5, v1
	s_delay_alu instid0(VALU_DEP_2)
	v_add_co_ci_u32_e32 v2, vcc_lo, v6, v2, vcc_lo
	global_load_b64 v[1:2], v[1:2], off glc
	s_waitcnt vmcnt(0)
	global_atomic_cmpswap_b64 v[6:7], v0, v[1:4], s[2:3] offset:24 glc
	s_waitcnt vmcnt(0)
	buffer_gl1_inv
	buffer_gl0_inv
	v_cmpx_ne_u64_e64 v[6:7], v[3:4]
	s_cbranch_execz .LBB7_376
; %bb.373:
	s_mov_b32 s5, 0
	.p2align	6
.LBB7_374:                              ; =>This Inner Loop Header: Depth=1
	s_sleep 1
	s_clause 0x1
	global_load_b64 v[1:2], v0, s[2:3] offset:40
	global_load_b64 v[8:9], v0, s[2:3]
	v_dual_mov_b32 v3, v6 :: v_dual_mov_b32 v4, v7
	s_waitcnt vmcnt(1)
	s_delay_alu instid0(VALU_DEP_1) | instskip(NEXT) | instid1(VALU_DEP_2)
	v_and_b32_e32 v1, v1, v3
	v_and_b32_e32 v2, v2, v4
	s_waitcnt vmcnt(0)
	s_delay_alu instid0(VALU_DEP_2) | instskip(NEXT) | instid1(VALU_DEP_1)
	v_mad_u64_u32 v[5:6], null, v1, 24, v[8:9]
	v_mov_b32_e32 v1, v6
	s_delay_alu instid0(VALU_DEP_1)
	v_mad_u64_u32 v[6:7], null, v2, 24, v[1:2]
	global_load_b64 v[1:2], v[5:6], off glc
	s_waitcnt vmcnt(0)
	global_atomic_cmpswap_b64 v[6:7], v0, v[1:4], s[2:3] offset:24 glc
	s_waitcnt vmcnt(0)
	buffer_gl1_inv
	buffer_gl0_inv
	v_cmp_eq_u64_e32 vcc_lo, v[6:7], v[3:4]
	s_or_b32 s5, vcc_lo, s5
	s_delay_alu instid0(SALU_CYCLE_1)
	s_and_not1_b32 exec_lo, exec_lo, s5
	s_cbranch_execnz .LBB7_374
; %bb.375:
	s_or_b32 exec_lo, exec_lo, s5
.LBB7_376:
	s_delay_alu instid0(SALU_CYCLE_1)
	s_or_b32 exec_lo, exec_lo, s4
.LBB7_377:
	s_delay_alu instid0(SALU_CYCLE_1)
	s_or_b32 exec_lo, exec_lo, s1
	v_mov_b32_e32 v5, 0
	v_readfirstlane_b32 s4, v6
	v_readfirstlane_b32 s5, v7
	s_mov_b32 s1, exec_lo
	s_waitcnt lgkmcnt(0)
	s_clause 0x1
	global_load_b64 v[8:9], v5, s[2:3] offset:40
	global_load_b128 v[0:3], v5, s[2:3]
	s_waitcnt vmcnt(1)
	v_readfirstlane_b32 s6, v8
	v_readfirstlane_b32 s7, v9
	s_delay_alu instid0(VALU_DEP_1) | instskip(NEXT) | instid1(SALU_CYCLE_1)
	s_and_b64 s[6:7], s[4:5], s[6:7]
	s_mul_i32 s8, s7, 24
	s_mul_hi_u32 s9, s6, 24
	s_mul_i32 s10, s6, 24
	s_add_i32 s9, s9, s8
	s_waitcnt vmcnt(0)
	v_add_co_u32 v8, vcc_lo, v0, s10
	v_add_co_ci_u32_e32 v9, vcc_lo, s9, v1, vcc_lo
	s_and_saveexec_b32 s8, s0
	s_cbranch_execz .LBB7_379
; %bb.378:
	v_dual_mov_b32 v4, s1 :: v_dual_mov_b32 v7, 1
	v_mov_b32_e32 v6, 2
	global_store_b128 v[8:9], v[4:7], off offset:8
.LBB7_379:
	s_or_b32 exec_lo, exec_lo, s8
	s_lshl_b64 s[6:7], s[6:7], 12
	v_dual_mov_b32 v7, v5 :: v_dual_lshlrev_b32 v28, 6, v29
	v_add_co_u32 v2, vcc_lo, v2, s6
	v_add_co_ci_u32_e32 v3, vcc_lo, s7, v3, vcc_lo
	s_mov_b32 s8, 0
	s_delay_alu instid0(VALU_DEP_2)
	v_add_co_u32 v10, vcc_lo, v2, v28
	s_mov_b32 s11, s8
	s_mov_b32 s9, s8
	;; [unrolled: 1-line block ×3, first 2 shown]
	v_dual_mov_b32 v4, 33 :: v_dual_mov_b32 v15, s11
	v_dual_mov_b32 v6, v5 :: v_dual_mov_b32 v13, s9
	v_readfirstlane_b32 s6, v2
	v_readfirstlane_b32 s7, v3
	v_add_co_ci_u32_e32 v11, vcc_lo, 0, v3, vcc_lo
	v_mov_b32_e32 v14, s10
	v_mov_b32_e32 v12, s8
	s_clause 0x3
	global_store_b128 v28, v[4:7], s[6:7]
	global_store_b128 v28, v[12:15], s[6:7] offset:16
	global_store_b128 v28, v[12:15], s[6:7] offset:32
	;; [unrolled: 1-line block ×3, first 2 shown]
	s_and_saveexec_b32 s1, s0
	s_cbranch_execz .LBB7_387
; %bb.380:
	v_mov_b32_e32 v6, 0
	s_mov_b32 s6, exec_lo
	s_clause 0x1
	global_load_b64 v[14:15], v6, s[2:3] offset:32 glc
	global_load_b64 v[2:3], v6, s[2:3] offset:40
	v_dual_mov_b32 v13, s5 :: v_dual_mov_b32 v12, s4
	s_waitcnt vmcnt(0)
	v_and_b32_e32 v3, s5, v3
	v_and_b32_e32 v2, s4, v2
	s_delay_alu instid0(VALU_DEP_2) | instskip(NEXT) | instid1(VALU_DEP_2)
	v_mul_lo_u32 v3, v3, 24
	v_mul_hi_u32 v4, v2, 24
	v_mul_lo_u32 v2, v2, 24
	s_delay_alu instid0(VALU_DEP_2) | instskip(NEXT) | instid1(VALU_DEP_2)
	v_add_nc_u32_e32 v3, v4, v3
	v_add_co_u32 v4, vcc_lo, v0, v2
	s_delay_alu instid0(VALU_DEP_2)
	v_add_co_ci_u32_e32 v5, vcc_lo, v1, v3, vcc_lo
	global_store_b64 v[4:5], v[14:15], off
	s_waitcnt_vscnt null, 0x0
	global_atomic_cmpswap_b64 v[2:3], v6, v[12:15], s[2:3] offset:32 glc
	s_waitcnt vmcnt(0)
	v_cmpx_ne_u64_e64 v[2:3], v[14:15]
	s_cbranch_execz .LBB7_383
; %bb.381:
	s_mov_b32 s7, 0
.LBB7_382:                              ; =>This Inner Loop Header: Depth=1
	v_dual_mov_b32 v0, s4 :: v_dual_mov_b32 v1, s5
	s_sleep 1
	global_store_b64 v[4:5], v[2:3], off
	s_waitcnt_vscnt null, 0x0
	global_atomic_cmpswap_b64 v[0:1], v6, v[0:3], s[2:3] offset:32 glc
	s_waitcnt vmcnt(0)
	v_cmp_eq_u64_e32 vcc_lo, v[0:1], v[2:3]
	v_dual_mov_b32 v3, v1 :: v_dual_mov_b32 v2, v0
	s_or_b32 s7, vcc_lo, s7
	s_delay_alu instid0(SALU_CYCLE_1)
	s_and_not1_b32 exec_lo, exec_lo, s7
	s_cbranch_execnz .LBB7_382
.LBB7_383:
	s_or_b32 exec_lo, exec_lo, s6
	v_mov_b32_e32 v3, 0
	s_mov_b32 s7, exec_lo
	s_mov_b32 s6, exec_lo
	v_mbcnt_lo_u32_b32 v2, s7, 0
	global_load_b64 v[0:1], v3, s[2:3] offset:16
	v_cmpx_eq_u32_e32 0, v2
	s_cbranch_execz .LBB7_385
; %bb.384:
	s_bcnt1_i32_b32 s7, s7
	s_delay_alu instid0(SALU_CYCLE_1)
	v_mov_b32_e32 v2, s7
	s_waitcnt vmcnt(0)
	global_atomic_add_u64 v[0:1], v[2:3], off offset:8
.LBB7_385:
	s_or_b32 exec_lo, exec_lo, s6
	s_waitcnt vmcnt(0)
	global_load_b64 v[2:3], v[0:1], off offset:16
	s_waitcnt vmcnt(0)
	v_cmp_eq_u64_e32 vcc_lo, 0, v[2:3]
	s_cbranch_vccnz .LBB7_387
; %bb.386:
	global_load_b32 v0, v[0:1], off offset:24
	s_waitcnt vmcnt(0)
	v_dual_mov_b32 v1, 0 :: v_dual_and_b32 v4, 0xffffff, v0
	s_waitcnt_vscnt null, 0x0
	global_store_b64 v[2:3], v[0:1], off
	v_readfirstlane_b32 m0, v4
	s_sendmsg sendmsg(MSG_INTERRUPT)
.LBB7_387:
	s_or_b32 exec_lo, exec_lo, s1
	s_branch .LBB7_391
	.p2align	6
.LBB7_388:                              ;   in Loop: Header=BB7_391 Depth=1
	s_or_b32 exec_lo, exec_lo, s1
	s_delay_alu instid0(VALU_DEP_1) | instskip(NEXT) | instid1(VALU_DEP_1)
	v_readfirstlane_b32 s1, v0
	s_cmp_eq_u32 s1, 0
	s_cbranch_scc1 .LBB7_390
; %bb.389:                              ;   in Loop: Header=BB7_391 Depth=1
	s_sleep 1
	s_cbranch_execnz .LBB7_391
	s_branch .LBB7_437
	.p2align	6
.LBB7_390:
	s_branch .LBB7_437
.LBB7_391:                              ; =>This Inner Loop Header: Depth=1
	v_mov_b32_e32 v0, 1
	s_and_saveexec_b32 s1, s0
	s_cbranch_execz .LBB7_388
; %bb.392:                              ;   in Loop: Header=BB7_391 Depth=1
	global_load_b32 v0, v[8:9], off offset:20 glc
	s_waitcnt vmcnt(0)
	buffer_gl1_inv
	buffer_gl0_inv
	v_and_b32_e32 v0, 1, v0
	s_branch .LBB7_388
.LBB7_393:
	v_readlane_b32 s0, v123, 2
	v_readlane_b32 s1, v123, 3
	v_mbcnt_lo_u32_b32 v29, -1, 0
	s_waitcnt vmcnt(0)
	v_mov_b32_e32 v6, 0
	v_mov_b32_e32 v7, 0
	s_load_b64 s[2:3], s[0:1], 0x50
	v_readfirstlane_b32 s0, v29
	s_delay_alu instid0(VALU_DEP_1) | instskip(NEXT) | instid1(VALU_DEP_1)
	v_cmp_eq_u32_e64 s0, s0, v29
	s_and_saveexec_b32 s1, s0
	s_cbranch_execz .LBB7_399
; %bb.394:
	v_mov_b32_e32 v0, 0
	s_mov_b32 s4, exec_lo
	s_waitcnt lgkmcnt(0)
	global_load_b64 v[3:4], v0, s[2:3] offset:24 glc
	s_waitcnt vmcnt(0)
	buffer_gl1_inv
	buffer_gl0_inv
	s_clause 0x1
	global_load_b64 v[1:2], v0, s[2:3] offset:40
	global_load_b64 v[5:6], v0, s[2:3]
	s_waitcnt vmcnt(1)
	v_and_b32_e32 v1, v1, v3
	v_and_b32_e32 v2, v2, v4
	s_delay_alu instid0(VALU_DEP_2) | instskip(NEXT) | instid1(VALU_DEP_2)
	v_mul_hi_u32 v7, v1, 24
	v_mul_lo_u32 v2, v2, 24
	v_mul_lo_u32 v1, v1, 24
	s_delay_alu instid0(VALU_DEP_2) | instskip(SKIP_1) | instid1(VALU_DEP_2)
	v_add_nc_u32_e32 v2, v7, v2
	s_waitcnt vmcnt(0)
	v_add_co_u32 v1, vcc_lo, v5, v1
	s_delay_alu instid0(VALU_DEP_2)
	v_add_co_ci_u32_e32 v2, vcc_lo, v6, v2, vcc_lo
	global_load_b64 v[1:2], v[1:2], off glc
	s_waitcnt vmcnt(0)
	global_atomic_cmpswap_b64 v[6:7], v0, v[1:4], s[2:3] offset:24 glc
	s_waitcnt vmcnt(0)
	buffer_gl1_inv
	buffer_gl0_inv
	v_cmpx_ne_u64_e64 v[6:7], v[3:4]
	s_cbranch_execz .LBB7_398
; %bb.395:
	s_mov_b32 s5, 0
	.p2align	6
.LBB7_396:                              ; =>This Inner Loop Header: Depth=1
	s_sleep 1
	s_clause 0x1
	global_load_b64 v[1:2], v0, s[2:3] offset:40
	global_load_b64 v[8:9], v0, s[2:3]
	v_dual_mov_b32 v3, v6 :: v_dual_mov_b32 v4, v7
	s_waitcnt vmcnt(1)
	s_delay_alu instid0(VALU_DEP_1) | instskip(NEXT) | instid1(VALU_DEP_2)
	v_and_b32_e32 v1, v1, v3
	v_and_b32_e32 v2, v2, v4
	s_waitcnt vmcnt(0)
	s_delay_alu instid0(VALU_DEP_2) | instskip(NEXT) | instid1(VALU_DEP_1)
	v_mad_u64_u32 v[5:6], null, v1, 24, v[8:9]
	v_mov_b32_e32 v1, v6
	s_delay_alu instid0(VALU_DEP_1)
	v_mad_u64_u32 v[6:7], null, v2, 24, v[1:2]
	global_load_b64 v[1:2], v[5:6], off glc
	s_waitcnt vmcnt(0)
	global_atomic_cmpswap_b64 v[6:7], v0, v[1:4], s[2:3] offset:24 glc
	s_waitcnt vmcnt(0)
	buffer_gl1_inv
	buffer_gl0_inv
	v_cmp_eq_u64_e32 vcc_lo, v[6:7], v[3:4]
	s_or_b32 s5, vcc_lo, s5
	s_delay_alu instid0(SALU_CYCLE_1)
	s_and_not1_b32 exec_lo, exec_lo, s5
	s_cbranch_execnz .LBB7_396
; %bb.397:
	s_or_b32 exec_lo, exec_lo, s5
.LBB7_398:
	s_delay_alu instid0(SALU_CYCLE_1)
	s_or_b32 exec_lo, exec_lo, s4
.LBB7_399:
	s_delay_alu instid0(SALU_CYCLE_1)
	s_or_b32 exec_lo, exec_lo, s1
	v_mov_b32_e32 v5, 0
	v_readfirstlane_b32 s4, v6
	v_readfirstlane_b32 s5, v7
	s_mov_b32 s1, exec_lo
	s_waitcnt lgkmcnt(0)
	s_clause 0x1
	global_load_b64 v[8:9], v5, s[2:3] offset:40
	global_load_b128 v[0:3], v5, s[2:3]
	s_waitcnt vmcnt(1)
	v_readfirstlane_b32 s6, v8
	v_readfirstlane_b32 s7, v9
	s_delay_alu instid0(VALU_DEP_1) | instskip(NEXT) | instid1(SALU_CYCLE_1)
	s_and_b64 s[6:7], s[4:5], s[6:7]
	s_mul_i32 s8, s7, 24
	s_mul_hi_u32 s9, s6, 24
	s_mul_i32 s10, s6, 24
	s_add_i32 s9, s9, s8
	s_waitcnt vmcnt(0)
	v_add_co_u32 v8, vcc_lo, v0, s10
	v_add_co_ci_u32_e32 v9, vcc_lo, s9, v1, vcc_lo
	s_and_saveexec_b32 s8, s0
	s_cbranch_execz .LBB7_401
; %bb.400:
	v_dual_mov_b32 v4, s1 :: v_dual_mov_b32 v7, 1
	v_mov_b32_e32 v6, 2
	global_store_b128 v[8:9], v[4:7], off offset:8
.LBB7_401:
	s_or_b32 exec_lo, exec_lo, s8
	s_lshl_b64 s[6:7], s[6:7], 12
	v_dual_mov_b32 v7, v5 :: v_dual_lshlrev_b32 v28, 6, v29
	v_add_co_u32 v2, vcc_lo, v2, s6
	v_add_co_ci_u32_e32 v3, vcc_lo, s7, v3, vcc_lo
	s_mov_b32 s8, 0
	s_delay_alu instid0(VALU_DEP_2)
	v_add_co_u32 v10, vcc_lo, v2, v28
	s_mov_b32 s11, s8
	s_mov_b32 s9, s8
	;; [unrolled: 1-line block ×3, first 2 shown]
	v_dual_mov_b32 v4, 33 :: v_dual_mov_b32 v15, s11
	v_dual_mov_b32 v6, v5 :: v_dual_mov_b32 v13, s9
	v_readfirstlane_b32 s6, v2
	v_readfirstlane_b32 s7, v3
	v_add_co_ci_u32_e32 v11, vcc_lo, 0, v3, vcc_lo
	v_mov_b32_e32 v14, s10
	v_mov_b32_e32 v12, s8
	s_clause 0x3
	global_store_b128 v28, v[4:7], s[6:7]
	global_store_b128 v28, v[12:15], s[6:7] offset:16
	global_store_b128 v28, v[12:15], s[6:7] offset:32
	;; [unrolled: 1-line block ×3, first 2 shown]
	s_and_saveexec_b32 s1, s0
	s_cbranch_execz .LBB7_409
; %bb.402:
	v_mov_b32_e32 v6, 0
	s_mov_b32 s6, exec_lo
	s_clause 0x1
	global_load_b64 v[14:15], v6, s[2:3] offset:32 glc
	global_load_b64 v[2:3], v6, s[2:3] offset:40
	v_dual_mov_b32 v13, s5 :: v_dual_mov_b32 v12, s4
	s_waitcnt vmcnt(0)
	v_and_b32_e32 v3, s5, v3
	v_and_b32_e32 v2, s4, v2
	s_delay_alu instid0(VALU_DEP_2) | instskip(NEXT) | instid1(VALU_DEP_2)
	v_mul_lo_u32 v3, v3, 24
	v_mul_hi_u32 v4, v2, 24
	v_mul_lo_u32 v2, v2, 24
	s_delay_alu instid0(VALU_DEP_2) | instskip(NEXT) | instid1(VALU_DEP_2)
	v_add_nc_u32_e32 v3, v4, v3
	v_add_co_u32 v4, vcc_lo, v0, v2
	s_delay_alu instid0(VALU_DEP_2)
	v_add_co_ci_u32_e32 v5, vcc_lo, v1, v3, vcc_lo
	global_store_b64 v[4:5], v[14:15], off
	s_waitcnt_vscnt null, 0x0
	global_atomic_cmpswap_b64 v[2:3], v6, v[12:15], s[2:3] offset:32 glc
	s_waitcnt vmcnt(0)
	v_cmpx_ne_u64_e64 v[2:3], v[14:15]
	s_cbranch_execz .LBB7_405
; %bb.403:
	s_mov_b32 s7, 0
.LBB7_404:                              ; =>This Inner Loop Header: Depth=1
	v_dual_mov_b32 v0, s4 :: v_dual_mov_b32 v1, s5
	s_sleep 1
	global_store_b64 v[4:5], v[2:3], off
	s_waitcnt_vscnt null, 0x0
	global_atomic_cmpswap_b64 v[0:1], v6, v[0:3], s[2:3] offset:32 glc
	s_waitcnt vmcnt(0)
	v_cmp_eq_u64_e32 vcc_lo, v[0:1], v[2:3]
	v_dual_mov_b32 v3, v1 :: v_dual_mov_b32 v2, v0
	s_or_b32 s7, vcc_lo, s7
	s_delay_alu instid0(SALU_CYCLE_1)
	s_and_not1_b32 exec_lo, exec_lo, s7
	s_cbranch_execnz .LBB7_404
.LBB7_405:
	s_or_b32 exec_lo, exec_lo, s6
	v_mov_b32_e32 v3, 0
	s_mov_b32 s7, exec_lo
	s_mov_b32 s6, exec_lo
	v_mbcnt_lo_u32_b32 v2, s7, 0
	global_load_b64 v[0:1], v3, s[2:3] offset:16
	v_cmpx_eq_u32_e32 0, v2
	s_cbranch_execz .LBB7_407
; %bb.406:
	s_bcnt1_i32_b32 s7, s7
	s_delay_alu instid0(SALU_CYCLE_1)
	v_mov_b32_e32 v2, s7
	s_waitcnt vmcnt(0)
	global_atomic_add_u64 v[0:1], v[2:3], off offset:8
.LBB7_407:
	s_or_b32 exec_lo, exec_lo, s6
	s_waitcnt vmcnt(0)
	global_load_b64 v[2:3], v[0:1], off offset:16
	s_waitcnt vmcnt(0)
	v_cmp_eq_u64_e32 vcc_lo, 0, v[2:3]
	s_cbranch_vccnz .LBB7_409
; %bb.408:
	global_load_b32 v0, v[0:1], off offset:24
	s_waitcnt vmcnt(0)
	v_dual_mov_b32 v1, 0 :: v_dual_and_b32 v4, 0xffffff, v0
	s_waitcnt_vscnt null, 0x0
	global_store_b64 v[2:3], v[0:1], off
	v_readfirstlane_b32 m0, v4
	s_sendmsg sendmsg(MSG_INTERRUPT)
.LBB7_409:
	s_or_b32 exec_lo, exec_lo, s1
	s_branch .LBB7_413
	.p2align	6
.LBB7_410:                              ;   in Loop: Header=BB7_413 Depth=1
	s_or_b32 exec_lo, exec_lo, s1
	s_delay_alu instid0(VALU_DEP_1) | instskip(NEXT) | instid1(VALU_DEP_1)
	v_readfirstlane_b32 s1, v0
	s_cmp_eq_u32 s1, 0
	s_cbranch_scc1 .LBB7_412
; %bb.411:                              ;   in Loop: Header=BB7_413 Depth=1
	s_sleep 1
	s_cbranch_execnz .LBB7_413
	s_branch .LBB7_519
	.p2align	6
.LBB7_412:
	s_branch .LBB7_519
.LBB7_413:                              ; =>This Inner Loop Header: Depth=1
	v_mov_b32_e32 v0, 1
	s_and_saveexec_b32 s1, s0
	s_cbranch_execz .LBB7_410
; %bb.414:                              ;   in Loop: Header=BB7_413 Depth=1
	global_load_b32 v0, v[8:9], off offset:20 glc
	s_waitcnt vmcnt(0)
	buffer_gl1_inv
	buffer_gl0_inv
	v_and_b32_e32 v0, 1, v0
	s_branch .LBB7_410
.LBB7_415:
	v_readlane_b32 s0, v123, 2
	v_readlane_b32 s1, v123, 3
	v_mbcnt_lo_u32_b32 v29, -1, 0
	s_waitcnt vmcnt(0)
	v_mov_b32_e32 v6, 0
	v_mov_b32_e32 v7, 0
	s_load_b64 s[2:3], s[0:1], 0x50
	v_readfirstlane_b32 s0, v29
	s_delay_alu instid0(VALU_DEP_1) | instskip(NEXT) | instid1(VALU_DEP_1)
	v_cmp_eq_u32_e64 s0, s0, v29
	s_and_saveexec_b32 s1, s0
	s_cbranch_execz .LBB7_421
; %bb.416:
	v_mov_b32_e32 v0, 0
	s_mov_b32 s4, exec_lo
	s_waitcnt lgkmcnt(0)
	global_load_b64 v[3:4], v0, s[2:3] offset:24 glc
	s_waitcnt vmcnt(0)
	buffer_gl1_inv
	buffer_gl0_inv
	s_clause 0x1
	global_load_b64 v[1:2], v0, s[2:3] offset:40
	global_load_b64 v[5:6], v0, s[2:3]
	s_waitcnt vmcnt(1)
	v_and_b32_e32 v1, v1, v3
	v_and_b32_e32 v2, v2, v4
	s_delay_alu instid0(VALU_DEP_2) | instskip(NEXT) | instid1(VALU_DEP_2)
	v_mul_hi_u32 v7, v1, 24
	v_mul_lo_u32 v2, v2, 24
	v_mul_lo_u32 v1, v1, 24
	s_delay_alu instid0(VALU_DEP_2) | instskip(SKIP_1) | instid1(VALU_DEP_2)
	v_add_nc_u32_e32 v2, v7, v2
	s_waitcnt vmcnt(0)
	v_add_co_u32 v1, vcc_lo, v5, v1
	s_delay_alu instid0(VALU_DEP_2)
	v_add_co_ci_u32_e32 v2, vcc_lo, v6, v2, vcc_lo
	global_load_b64 v[1:2], v[1:2], off glc
	s_waitcnt vmcnt(0)
	global_atomic_cmpswap_b64 v[6:7], v0, v[1:4], s[2:3] offset:24 glc
	s_waitcnt vmcnt(0)
	buffer_gl1_inv
	buffer_gl0_inv
	v_cmpx_ne_u64_e64 v[6:7], v[3:4]
	s_cbranch_execz .LBB7_420
; %bb.417:
	s_mov_b32 s5, 0
	.p2align	6
.LBB7_418:                              ; =>This Inner Loop Header: Depth=1
	s_sleep 1
	s_clause 0x1
	global_load_b64 v[1:2], v0, s[2:3] offset:40
	global_load_b64 v[8:9], v0, s[2:3]
	v_dual_mov_b32 v3, v6 :: v_dual_mov_b32 v4, v7
	s_waitcnt vmcnt(1)
	s_delay_alu instid0(VALU_DEP_1) | instskip(NEXT) | instid1(VALU_DEP_2)
	v_and_b32_e32 v1, v1, v3
	v_and_b32_e32 v2, v2, v4
	s_waitcnt vmcnt(0)
	s_delay_alu instid0(VALU_DEP_2) | instskip(NEXT) | instid1(VALU_DEP_1)
	v_mad_u64_u32 v[5:6], null, v1, 24, v[8:9]
	v_mov_b32_e32 v1, v6
	s_delay_alu instid0(VALU_DEP_1)
	v_mad_u64_u32 v[6:7], null, v2, 24, v[1:2]
	global_load_b64 v[1:2], v[5:6], off glc
	s_waitcnt vmcnt(0)
	global_atomic_cmpswap_b64 v[6:7], v0, v[1:4], s[2:3] offset:24 glc
	s_waitcnt vmcnt(0)
	buffer_gl1_inv
	buffer_gl0_inv
	v_cmp_eq_u64_e32 vcc_lo, v[6:7], v[3:4]
	s_or_b32 s5, vcc_lo, s5
	s_delay_alu instid0(SALU_CYCLE_1)
	s_and_not1_b32 exec_lo, exec_lo, s5
	s_cbranch_execnz .LBB7_418
; %bb.419:
	s_or_b32 exec_lo, exec_lo, s5
.LBB7_420:
	s_delay_alu instid0(SALU_CYCLE_1)
	s_or_b32 exec_lo, exec_lo, s4
.LBB7_421:
	s_delay_alu instid0(SALU_CYCLE_1)
	s_or_b32 exec_lo, exec_lo, s1
	v_mov_b32_e32 v5, 0
	v_readfirstlane_b32 s4, v6
	v_readfirstlane_b32 s5, v7
	s_mov_b32 s1, exec_lo
	s_waitcnt lgkmcnt(0)
	s_clause 0x1
	global_load_b64 v[8:9], v5, s[2:3] offset:40
	global_load_b128 v[0:3], v5, s[2:3]
	s_waitcnt vmcnt(1)
	v_readfirstlane_b32 s6, v8
	v_readfirstlane_b32 s7, v9
	s_delay_alu instid0(VALU_DEP_1) | instskip(NEXT) | instid1(SALU_CYCLE_1)
	s_and_b64 s[6:7], s[4:5], s[6:7]
	s_mul_i32 s8, s7, 24
	s_mul_hi_u32 s9, s6, 24
	s_mul_i32 s10, s6, 24
	s_add_i32 s9, s9, s8
	s_waitcnt vmcnt(0)
	v_add_co_u32 v8, vcc_lo, v0, s10
	v_add_co_ci_u32_e32 v9, vcc_lo, s9, v1, vcc_lo
	s_and_saveexec_b32 s8, s0
	s_cbranch_execz .LBB7_423
; %bb.422:
	v_dual_mov_b32 v4, s1 :: v_dual_mov_b32 v7, 1
	v_mov_b32_e32 v6, 2
	global_store_b128 v[8:9], v[4:7], off offset:8
.LBB7_423:
	s_or_b32 exec_lo, exec_lo, s8
	s_lshl_b64 s[6:7], s[6:7], 12
	v_dual_mov_b32 v7, v5 :: v_dual_lshlrev_b32 v28, 6, v29
	v_add_co_u32 v2, vcc_lo, v2, s6
	v_add_co_ci_u32_e32 v3, vcc_lo, s7, v3, vcc_lo
	s_mov_b32 s8, 0
	s_delay_alu instid0(VALU_DEP_2)
	v_add_co_u32 v10, vcc_lo, v2, v28
	s_mov_b32 s11, s8
	s_mov_b32 s9, s8
	;; [unrolled: 1-line block ×3, first 2 shown]
	v_dual_mov_b32 v4, 33 :: v_dual_mov_b32 v15, s11
	v_dual_mov_b32 v6, v5 :: v_dual_mov_b32 v13, s9
	v_readfirstlane_b32 s6, v2
	v_readfirstlane_b32 s7, v3
	v_add_co_ci_u32_e32 v11, vcc_lo, 0, v3, vcc_lo
	v_mov_b32_e32 v14, s10
	v_mov_b32_e32 v12, s8
	s_clause 0x3
	global_store_b128 v28, v[4:7], s[6:7]
	global_store_b128 v28, v[12:15], s[6:7] offset:16
	global_store_b128 v28, v[12:15], s[6:7] offset:32
	;; [unrolled: 1-line block ×3, first 2 shown]
	s_and_saveexec_b32 s1, s0
	s_cbranch_execz .LBB7_431
; %bb.424:
	v_mov_b32_e32 v6, 0
	s_mov_b32 s6, exec_lo
	s_clause 0x1
	global_load_b64 v[14:15], v6, s[2:3] offset:32 glc
	global_load_b64 v[2:3], v6, s[2:3] offset:40
	v_dual_mov_b32 v13, s5 :: v_dual_mov_b32 v12, s4
	s_waitcnt vmcnt(0)
	v_and_b32_e32 v3, s5, v3
	v_and_b32_e32 v2, s4, v2
	s_delay_alu instid0(VALU_DEP_2) | instskip(NEXT) | instid1(VALU_DEP_2)
	v_mul_lo_u32 v3, v3, 24
	v_mul_hi_u32 v4, v2, 24
	v_mul_lo_u32 v2, v2, 24
	s_delay_alu instid0(VALU_DEP_2) | instskip(NEXT) | instid1(VALU_DEP_2)
	v_add_nc_u32_e32 v3, v4, v3
	v_add_co_u32 v4, vcc_lo, v0, v2
	s_delay_alu instid0(VALU_DEP_2)
	v_add_co_ci_u32_e32 v5, vcc_lo, v1, v3, vcc_lo
	global_store_b64 v[4:5], v[14:15], off
	s_waitcnt_vscnt null, 0x0
	global_atomic_cmpswap_b64 v[2:3], v6, v[12:15], s[2:3] offset:32 glc
	s_waitcnt vmcnt(0)
	v_cmpx_ne_u64_e64 v[2:3], v[14:15]
	s_cbranch_execz .LBB7_427
; %bb.425:
	s_mov_b32 s7, 0
.LBB7_426:                              ; =>This Inner Loop Header: Depth=1
	v_dual_mov_b32 v0, s4 :: v_dual_mov_b32 v1, s5
	s_sleep 1
	global_store_b64 v[4:5], v[2:3], off
	s_waitcnt_vscnt null, 0x0
	global_atomic_cmpswap_b64 v[0:1], v6, v[0:3], s[2:3] offset:32 glc
	s_waitcnt vmcnt(0)
	v_cmp_eq_u64_e32 vcc_lo, v[0:1], v[2:3]
	v_dual_mov_b32 v3, v1 :: v_dual_mov_b32 v2, v0
	s_or_b32 s7, vcc_lo, s7
	s_delay_alu instid0(SALU_CYCLE_1)
	s_and_not1_b32 exec_lo, exec_lo, s7
	s_cbranch_execnz .LBB7_426
.LBB7_427:
	s_or_b32 exec_lo, exec_lo, s6
	v_mov_b32_e32 v3, 0
	s_mov_b32 s7, exec_lo
	s_mov_b32 s6, exec_lo
	v_mbcnt_lo_u32_b32 v2, s7, 0
	global_load_b64 v[0:1], v3, s[2:3] offset:16
	v_cmpx_eq_u32_e32 0, v2
	s_cbranch_execz .LBB7_429
; %bb.428:
	s_bcnt1_i32_b32 s7, s7
	s_delay_alu instid0(SALU_CYCLE_1)
	v_mov_b32_e32 v2, s7
	s_waitcnt vmcnt(0)
	global_atomic_add_u64 v[0:1], v[2:3], off offset:8
.LBB7_429:
	s_or_b32 exec_lo, exec_lo, s6
	s_waitcnt vmcnt(0)
	global_load_b64 v[2:3], v[0:1], off offset:16
	s_waitcnt vmcnt(0)
	v_cmp_eq_u64_e32 vcc_lo, 0, v[2:3]
	s_cbranch_vccnz .LBB7_431
; %bb.430:
	global_load_b32 v0, v[0:1], off offset:24
	s_waitcnt vmcnt(0)
	v_dual_mov_b32 v1, 0 :: v_dual_and_b32 v4, 0xffffff, v0
	s_waitcnt_vscnt null, 0x0
	global_store_b64 v[2:3], v[0:1], off
	v_readfirstlane_b32 m0, v4
	s_sendmsg sendmsg(MSG_INTERRUPT)
.LBB7_431:
	s_or_b32 exec_lo, exec_lo, s1
	s_branch .LBB7_435
	.p2align	6
.LBB7_432:                              ;   in Loop: Header=BB7_435 Depth=1
	s_or_b32 exec_lo, exec_lo, s1
	s_delay_alu instid0(VALU_DEP_1) | instskip(NEXT) | instid1(VALU_DEP_1)
	v_readfirstlane_b32 s1, v0
	s_cmp_eq_u32 s1, 0
	s_cbranch_scc1 .LBB7_434
; %bb.433:                              ;   in Loop: Header=BB7_435 Depth=1
	s_sleep 1
	s_cbranch_execnz .LBB7_435
	s_branch .LBB7_601
	.p2align	6
.LBB7_434:
	s_branch .LBB7_601
.LBB7_435:                              ; =>This Inner Loop Header: Depth=1
	v_mov_b32_e32 v0, 1
	s_and_saveexec_b32 s1, s0
	s_cbranch_execz .LBB7_432
; %bb.436:                              ;   in Loop: Header=BB7_435 Depth=1
	global_load_b32 v0, v[8:9], off offset:20 glc
	s_waitcnt vmcnt(0)
	buffer_gl1_inv
	buffer_gl0_inv
	v_and_b32_e32 v0, 1, v0
	s_branch .LBB7_432
.LBB7_437:
	global_load_b64 v[0:1], v[10:11], off
	s_and_saveexec_b32 s1, s0
	s_cbranch_execz .LBB7_441
; %bb.438:
	v_mov_b32_e32 v8, 0
	s_clause 0x2
	global_load_b64 v[4:5], v8, s[2:3] offset:40
	global_load_b64 v[9:10], v8, s[2:3] offset:24 glc
	global_load_b64 v[6:7], v8, s[2:3]
	s_waitcnt vmcnt(2)
	v_add_co_u32 v11, vcc_lo, v4, 1
	v_add_co_ci_u32_e32 v12, vcc_lo, 0, v5, vcc_lo
	s_delay_alu instid0(VALU_DEP_2) | instskip(NEXT) | instid1(VALU_DEP_2)
	v_add_co_u32 v2, vcc_lo, v11, s4
	v_add_co_ci_u32_e32 v3, vcc_lo, s5, v12, vcc_lo
	s_delay_alu instid0(VALU_DEP_1) | instskip(SKIP_1) | instid1(VALU_DEP_1)
	v_cmp_eq_u64_e32 vcc_lo, 0, v[2:3]
	v_dual_cndmask_b32 v3, v3, v12 :: v_dual_cndmask_b32 v2, v2, v11
	v_and_b32_e32 v5, v3, v5
	s_delay_alu instid0(VALU_DEP_2) | instskip(NEXT) | instid1(VALU_DEP_2)
	v_and_b32_e32 v4, v2, v4
	v_mul_lo_u32 v5, v5, 24
	s_delay_alu instid0(VALU_DEP_2) | instskip(SKIP_1) | instid1(VALU_DEP_2)
	v_mul_hi_u32 v11, v4, 24
	v_mul_lo_u32 v4, v4, 24
	v_add_nc_u32_e32 v5, v11, v5
	s_waitcnt vmcnt(0)
	s_delay_alu instid0(VALU_DEP_2) | instskip(SKIP_1) | instid1(VALU_DEP_3)
	v_add_co_u32 v6, vcc_lo, v6, v4
	v_mov_b32_e32 v4, v9
	v_add_co_ci_u32_e32 v7, vcc_lo, v7, v5, vcc_lo
	v_mov_b32_e32 v5, v10
	global_store_b64 v[6:7], v[9:10], off
	s_waitcnt_vscnt null, 0x0
	global_atomic_cmpswap_b64 v[4:5], v8, v[2:5], s[2:3] offset:24 glc
	s_waitcnt vmcnt(0)
	v_cmp_ne_u64_e32 vcc_lo, v[4:5], v[9:10]
	s_and_b32 exec_lo, exec_lo, vcc_lo
	s_cbranch_execz .LBB7_441
; %bb.439:
	s_mov_b32 s0, 0
.LBB7_440:                              ; =>This Inner Loop Header: Depth=1
	s_sleep 1
	global_store_b64 v[6:7], v[4:5], off
	s_waitcnt_vscnt null, 0x0
	global_atomic_cmpswap_b64 v[9:10], v8, v[2:5], s[2:3] offset:24 glc
	s_waitcnt vmcnt(0)
	v_cmp_eq_u64_e32 vcc_lo, v[9:10], v[4:5]
	v_dual_mov_b32 v4, v9 :: v_dual_mov_b32 v5, v10
	s_or_b32 s0, vcc_lo, s0
	s_delay_alu instid0(SALU_CYCLE_1)
	s_and_not1_b32 exec_lo, exec_lo, s0
	s_cbranch_execnz .LBB7_440
.LBB7_441:
	s_or_b32 exec_lo, exec_lo, s1
	s_getpc_b64 s[4:5]
	s_add_u32 s4, s4, .str.28@rel32@lo+4
	s_addc_u32 s5, s5, .str.28@rel32@hi+12
	s_delay_alu instid0(SALU_CYCLE_1)
	s_cmp_lg_u64 s[4:5], 0
	s_cbranch_scc0 .LBB7_686
; %bb.442:
	s_waitcnt vmcnt(0)
	v_dual_mov_b32 v7, v1 :: v_dual_and_b32 v6, -3, v0
	v_dual_mov_b32 v3, 0 :: v_dual_mov_b32 v4, 2
	v_mov_b32_e32 v5, 1
	s_mov_b64 s[6:7], 35
	s_branch .LBB7_444
.LBB7_443:                              ;   in Loop: Header=BB7_444 Depth=1
	s_or_b32 exec_lo, exec_lo, s1
	s_sub_u32 s6, s6, s8
	s_subb_u32 s7, s7, s9
	s_add_u32 s4, s4, s8
	s_addc_u32 s5, s5, s9
	s_cmp_lg_u64 s[6:7], 0
	s_cbranch_scc0 .LBB7_683
.LBB7_444:                              ; =>This Loop Header: Depth=1
                                        ;     Child Loop BB7_453 Depth 2
                                        ;     Child Loop BB7_449 Depth 2
	;; [unrolled: 1-line block ×11, first 2 shown]
	v_cmp_lt_u64_e64 s0, s[6:7], 56
	v_cmp_gt_u64_e64 s1, s[6:7], 7
                                        ; implicit-def: $sgpr14
	s_delay_alu instid0(VALU_DEP_2) | instskip(SKIP_2) | instid1(VALU_DEP_1)
	s_and_b32 s0, s0, exec_lo
	s_cselect_b32 s9, s7, 0
	s_cselect_b32 s8, s6, 56
	s_and_b32 vcc_lo, exec_lo, s1
	s_mov_b32 s0, -1
	s_cbranch_vccz .LBB7_451
; %bb.445:                              ;   in Loop: Header=BB7_444 Depth=1
	s_and_not1_b32 vcc_lo, exec_lo, s0
	s_mov_b64 s[0:1], s[4:5]
	s_cbranch_vccz .LBB7_455
.LBB7_446:                              ;   in Loop: Header=BB7_444 Depth=1
	s_cmp_gt_u32 s14, 7
	s_cbranch_scc1 .LBB7_456
.LBB7_447:                              ;   in Loop: Header=BB7_444 Depth=1
	v_mov_b32_e32 v10, 0
	v_mov_b32_e32 v11, 0
	s_cmp_eq_u32 s14, 0
	s_cbranch_scc1 .LBB7_450
; %bb.448:                              ;   in Loop: Header=BB7_444 Depth=1
	s_mov_b64 s[10:11], 0
	s_mov_b64 s[12:13], 0
.LBB7_449:                              ;   Parent Loop BB7_444 Depth=1
                                        ; =>  This Inner Loop Header: Depth=2
	s_delay_alu instid0(SALU_CYCLE_1)
	s_add_u32 s30, s0, s12
	s_addc_u32 s31, s1, s13
	s_add_u32 s12, s12, 1
	global_load_u8 v2, v3, s[30:31]
	s_addc_u32 s13, s13, 0
	s_waitcnt vmcnt(0)
	v_and_b32_e32 v2, 0xffff, v2
	s_delay_alu instid0(VALU_DEP_1) | instskip(SKIP_3) | instid1(VALU_DEP_1)
	v_lshlrev_b64 v[12:13], s10, v[2:3]
	s_add_u32 s10, s10, 8
	s_addc_u32 s11, s11, 0
	s_cmp_lg_u32 s14, s12
	v_or_b32_e32 v10, v12, v10
	s_delay_alu instid0(VALU_DEP_2)
	v_or_b32_e32 v11, v13, v11
	s_cbranch_scc1 .LBB7_449
.LBB7_450:                              ;   in Loop: Header=BB7_444 Depth=1
	s_mov_b32 s15, 0
	s_cbranch_execz .LBB7_457
	s_branch .LBB7_458
.LBB7_451:                              ;   in Loop: Header=BB7_444 Depth=1
	s_waitcnt vmcnt(0)
	v_mov_b32_e32 v8, 0
	v_mov_b32_e32 v9, 0
	s_cmp_eq_u64 s[6:7], 0
	s_mov_b64 s[0:1], 0
	s_cbranch_scc1 .LBB7_454
; %bb.452:                              ;   in Loop: Header=BB7_444 Depth=1
	v_mov_b32_e32 v8, 0
	v_mov_b32_e32 v9, 0
	s_lshl_b64 s[10:11], s[8:9], 3
	s_mov_b64 s[12:13], s[4:5]
.LBB7_453:                              ;   Parent Loop BB7_444 Depth=1
                                        ; =>  This Inner Loop Header: Depth=2
	global_load_u8 v2, v3, s[12:13]
	s_waitcnt vmcnt(0)
	v_and_b32_e32 v2, 0xffff, v2
	s_delay_alu instid0(VALU_DEP_1)
	v_lshlrev_b64 v[10:11], s0, v[2:3]
	s_add_u32 s0, s0, 8
	s_addc_u32 s1, s1, 0
	s_add_u32 s12, s12, 1
	s_addc_u32 s13, s13, 0
	s_cmp_lg_u32 s10, s0
	v_or_b32_e32 v8, v10, v8
	v_or_b32_e32 v9, v11, v9
	s_cbranch_scc1 .LBB7_453
.LBB7_454:                              ;   in Loop: Header=BB7_444 Depth=1
	s_mov_b32 s14, 0
	s_mov_b64 s[0:1], s[4:5]
	s_cbranch_execnz .LBB7_446
.LBB7_455:                              ;   in Loop: Header=BB7_444 Depth=1
	global_load_b64 v[8:9], v3, s[4:5]
	s_add_i32 s14, s8, -8
	s_add_u32 s0, s4, 8
	s_addc_u32 s1, s5, 0
	s_cmp_gt_u32 s14, 7
	s_cbranch_scc0 .LBB7_447
.LBB7_456:                              ;   in Loop: Header=BB7_444 Depth=1
                                        ; implicit-def: $vgpr10_vgpr11
                                        ; implicit-def: $sgpr15
.LBB7_457:                              ;   in Loop: Header=BB7_444 Depth=1
	global_load_b64 v[10:11], v3, s[0:1]
	s_add_i32 s15, s14, -8
	s_add_u32 s0, s0, 8
	s_addc_u32 s1, s1, 0
.LBB7_458:                              ;   in Loop: Header=BB7_444 Depth=1
	s_cmp_gt_u32 s15, 7
	s_cbranch_scc1 .LBB7_463
; %bb.459:                              ;   in Loop: Header=BB7_444 Depth=1
	v_mov_b32_e32 v12, 0
	v_mov_b32_e32 v13, 0
	s_cmp_eq_u32 s15, 0
	s_cbranch_scc1 .LBB7_462
; %bb.460:                              ;   in Loop: Header=BB7_444 Depth=1
	s_mov_b64 s[10:11], 0
	s_mov_b64 s[12:13], 0
.LBB7_461:                              ;   Parent Loop BB7_444 Depth=1
                                        ; =>  This Inner Loop Header: Depth=2
	s_delay_alu instid0(SALU_CYCLE_1)
	s_add_u32 s30, s0, s12
	s_addc_u32 s31, s1, s13
	s_add_u32 s12, s12, 1
	global_load_u8 v2, v3, s[30:31]
	s_addc_u32 s13, s13, 0
	s_waitcnt vmcnt(0)
	v_and_b32_e32 v2, 0xffff, v2
	s_delay_alu instid0(VALU_DEP_1) | instskip(SKIP_3) | instid1(VALU_DEP_1)
	v_lshlrev_b64 v[14:15], s10, v[2:3]
	s_add_u32 s10, s10, 8
	s_addc_u32 s11, s11, 0
	s_cmp_lg_u32 s15, s12
	v_or_b32_e32 v12, v14, v12
	s_delay_alu instid0(VALU_DEP_2)
	v_or_b32_e32 v13, v15, v13
	s_cbranch_scc1 .LBB7_461
.LBB7_462:                              ;   in Loop: Header=BB7_444 Depth=1
	s_mov_b32 s14, 0
	s_cbranch_execz .LBB7_464
	s_branch .LBB7_465
.LBB7_463:                              ;   in Loop: Header=BB7_444 Depth=1
                                        ; implicit-def: $sgpr14
.LBB7_464:                              ;   in Loop: Header=BB7_444 Depth=1
	global_load_b64 v[12:13], v3, s[0:1]
	s_add_i32 s14, s15, -8
	s_add_u32 s0, s0, 8
	s_addc_u32 s1, s1, 0
.LBB7_465:                              ;   in Loop: Header=BB7_444 Depth=1
	s_cmp_gt_u32 s14, 7
	s_cbranch_scc1 .LBB7_470
; %bb.466:                              ;   in Loop: Header=BB7_444 Depth=1
	v_mov_b32_e32 v14, 0
	v_mov_b32_e32 v15, 0
	s_cmp_eq_u32 s14, 0
	s_cbranch_scc1 .LBB7_469
; %bb.467:                              ;   in Loop: Header=BB7_444 Depth=1
	s_mov_b64 s[10:11], 0
	s_mov_b64 s[12:13], 0
.LBB7_468:                              ;   Parent Loop BB7_444 Depth=1
                                        ; =>  This Inner Loop Header: Depth=2
	s_delay_alu instid0(SALU_CYCLE_1)
	s_add_u32 s30, s0, s12
	s_addc_u32 s31, s1, s13
	s_add_u32 s12, s12, 1
	global_load_u8 v2, v3, s[30:31]
	s_addc_u32 s13, s13, 0
	s_waitcnt vmcnt(0)
	v_and_b32_e32 v2, 0xffff, v2
	s_delay_alu instid0(VALU_DEP_1) | instskip(SKIP_3) | instid1(VALU_DEP_1)
	v_lshlrev_b64 v[16:17], s10, v[2:3]
	s_add_u32 s10, s10, 8
	s_addc_u32 s11, s11, 0
	s_cmp_lg_u32 s14, s12
	v_or_b32_e32 v14, v16, v14
	s_delay_alu instid0(VALU_DEP_2)
	v_or_b32_e32 v15, v17, v15
	s_cbranch_scc1 .LBB7_468
.LBB7_469:                              ;   in Loop: Header=BB7_444 Depth=1
	s_mov_b32 s15, 0
	s_cbranch_execz .LBB7_471
	s_branch .LBB7_472
.LBB7_470:                              ;   in Loop: Header=BB7_444 Depth=1
                                        ; implicit-def: $vgpr14_vgpr15
                                        ; implicit-def: $sgpr15
.LBB7_471:                              ;   in Loop: Header=BB7_444 Depth=1
	global_load_b64 v[14:15], v3, s[0:1]
	s_add_i32 s15, s14, -8
	s_add_u32 s0, s0, 8
	s_addc_u32 s1, s1, 0
.LBB7_472:                              ;   in Loop: Header=BB7_444 Depth=1
	s_cmp_gt_u32 s15, 7
	s_cbranch_scc1 .LBB7_477
; %bb.473:                              ;   in Loop: Header=BB7_444 Depth=1
	v_mov_b32_e32 v16, 0
	v_mov_b32_e32 v17, 0
	s_cmp_eq_u32 s15, 0
	s_cbranch_scc1 .LBB7_476
; %bb.474:                              ;   in Loop: Header=BB7_444 Depth=1
	s_mov_b64 s[10:11], 0
	s_mov_b64 s[12:13], 0
.LBB7_475:                              ;   Parent Loop BB7_444 Depth=1
                                        ; =>  This Inner Loop Header: Depth=2
	s_delay_alu instid0(SALU_CYCLE_1)
	s_add_u32 s30, s0, s12
	s_addc_u32 s31, s1, s13
	s_add_u32 s12, s12, 1
	global_load_u8 v2, v3, s[30:31]
	s_addc_u32 s13, s13, 0
	s_waitcnt vmcnt(0)
	v_and_b32_e32 v2, 0xffff, v2
	s_delay_alu instid0(VALU_DEP_1) | instskip(SKIP_3) | instid1(VALU_DEP_1)
	v_lshlrev_b64 v[18:19], s10, v[2:3]
	s_add_u32 s10, s10, 8
	s_addc_u32 s11, s11, 0
	s_cmp_lg_u32 s15, s12
	v_or_b32_e32 v16, v18, v16
	s_delay_alu instid0(VALU_DEP_2)
	v_or_b32_e32 v17, v19, v17
	s_cbranch_scc1 .LBB7_475
.LBB7_476:                              ;   in Loop: Header=BB7_444 Depth=1
	s_mov_b32 s14, 0
	s_cbranch_execz .LBB7_478
	s_branch .LBB7_479
.LBB7_477:                              ;   in Loop: Header=BB7_444 Depth=1
                                        ; implicit-def: $sgpr14
.LBB7_478:                              ;   in Loop: Header=BB7_444 Depth=1
	global_load_b64 v[16:17], v3, s[0:1]
	s_add_i32 s14, s15, -8
	s_add_u32 s0, s0, 8
	s_addc_u32 s1, s1, 0
.LBB7_479:                              ;   in Loop: Header=BB7_444 Depth=1
	s_cmp_gt_u32 s14, 7
	s_cbranch_scc1 .LBB7_484
; %bb.480:                              ;   in Loop: Header=BB7_444 Depth=1
	v_mov_b32_e32 v18, 0
	v_mov_b32_e32 v19, 0
	s_cmp_eq_u32 s14, 0
	s_cbranch_scc1 .LBB7_483
; %bb.481:                              ;   in Loop: Header=BB7_444 Depth=1
	s_mov_b64 s[10:11], 0
	s_mov_b64 s[12:13], 0
.LBB7_482:                              ;   Parent Loop BB7_444 Depth=1
                                        ; =>  This Inner Loop Header: Depth=2
	s_delay_alu instid0(SALU_CYCLE_1)
	s_add_u32 s30, s0, s12
	s_addc_u32 s31, s1, s13
	s_add_u32 s12, s12, 1
	global_load_u8 v2, v3, s[30:31]
	s_addc_u32 s13, s13, 0
	s_waitcnt vmcnt(0)
	v_and_b32_e32 v2, 0xffff, v2
	s_delay_alu instid0(VALU_DEP_1) | instskip(SKIP_3) | instid1(VALU_DEP_1)
	v_lshlrev_b64 v[20:21], s10, v[2:3]
	s_add_u32 s10, s10, 8
	s_addc_u32 s11, s11, 0
	s_cmp_lg_u32 s14, s12
	v_or_b32_e32 v18, v20, v18
	s_delay_alu instid0(VALU_DEP_2)
	v_or_b32_e32 v19, v21, v19
	s_cbranch_scc1 .LBB7_482
.LBB7_483:                              ;   in Loop: Header=BB7_444 Depth=1
	s_mov_b32 s15, 0
	s_cbranch_execz .LBB7_485
	s_branch .LBB7_486
.LBB7_484:                              ;   in Loop: Header=BB7_444 Depth=1
                                        ; implicit-def: $vgpr18_vgpr19
                                        ; implicit-def: $sgpr15
.LBB7_485:                              ;   in Loop: Header=BB7_444 Depth=1
	global_load_b64 v[18:19], v3, s[0:1]
	s_add_i32 s15, s14, -8
	s_add_u32 s0, s0, 8
	s_addc_u32 s1, s1, 0
.LBB7_486:                              ;   in Loop: Header=BB7_444 Depth=1
	s_cmp_gt_u32 s15, 7
	s_cbranch_scc1 .LBB7_491
; %bb.487:                              ;   in Loop: Header=BB7_444 Depth=1
	v_mov_b32_e32 v20, 0
	v_mov_b32_e32 v21, 0
	s_cmp_eq_u32 s15, 0
	s_cbranch_scc1 .LBB7_490
; %bb.488:                              ;   in Loop: Header=BB7_444 Depth=1
	s_mov_b64 s[10:11], 0
	s_mov_b64 s[12:13], s[0:1]
.LBB7_489:                              ;   Parent Loop BB7_444 Depth=1
                                        ; =>  This Inner Loop Header: Depth=2
	global_load_u8 v2, v3, s[12:13]
	s_add_i32 s15, s15, -1
	s_waitcnt vmcnt(0)
	v_and_b32_e32 v2, 0xffff, v2
	s_delay_alu instid0(VALU_DEP_1)
	v_lshlrev_b64 v[22:23], s10, v[2:3]
	s_add_u32 s10, s10, 8
	s_addc_u32 s11, s11, 0
	s_add_u32 s12, s12, 1
	s_addc_u32 s13, s13, 0
	s_cmp_lg_u32 s15, 0
	v_or_b32_e32 v20, v22, v20
	v_or_b32_e32 v21, v23, v21
	s_cbranch_scc1 .LBB7_489
.LBB7_490:                              ;   in Loop: Header=BB7_444 Depth=1
	s_cbranch_execz .LBB7_492
	s_branch .LBB7_493
.LBB7_491:                              ;   in Loop: Header=BB7_444 Depth=1
.LBB7_492:                              ;   in Loop: Header=BB7_444 Depth=1
	global_load_b64 v[20:21], v3, s[0:1]
.LBB7_493:                              ;   in Loop: Header=BB7_444 Depth=1
	v_readfirstlane_b32 s0, v29
	v_mov_b32_e32 v26, 0
	v_mov_b32_e32 v27, 0
	s_delay_alu instid0(VALU_DEP_3) | instskip(NEXT) | instid1(VALU_DEP_1)
	v_cmp_eq_u32_e64 s0, s0, v29
	s_and_saveexec_b32 s1, s0
	s_cbranch_execz .LBB7_499
; %bb.494:                              ;   in Loop: Header=BB7_444 Depth=1
	global_load_b64 v[24:25], v3, s[2:3] offset:24 glc
	s_waitcnt vmcnt(0)
	buffer_gl1_inv
	buffer_gl0_inv
	s_clause 0x1
	global_load_b64 v[22:23], v3, s[2:3] offset:40
	global_load_b64 v[26:27], v3, s[2:3]
	s_mov_b32 s10, exec_lo
	s_waitcnt vmcnt(1)
	v_and_b32_e32 v2, v23, v25
	v_and_b32_e32 v22, v22, v24
	s_delay_alu instid0(VALU_DEP_2) | instskip(NEXT) | instid1(VALU_DEP_2)
	v_mul_lo_u32 v2, v2, 24
	v_mul_hi_u32 v23, v22, 24
	v_mul_lo_u32 v22, v22, 24
	s_delay_alu instid0(VALU_DEP_2) | instskip(SKIP_1) | instid1(VALU_DEP_2)
	v_add_nc_u32_e32 v2, v23, v2
	s_waitcnt vmcnt(0)
	v_add_co_u32 v22, vcc_lo, v26, v22
	s_delay_alu instid0(VALU_DEP_2)
	v_add_co_ci_u32_e32 v23, vcc_lo, v27, v2, vcc_lo
	global_load_b64 v[22:23], v[22:23], off glc
	s_waitcnt vmcnt(0)
	global_atomic_cmpswap_b64 v[26:27], v3, v[22:25], s[2:3] offset:24 glc
	s_waitcnt vmcnt(0)
	buffer_gl1_inv
	buffer_gl0_inv
	v_cmpx_ne_u64_e64 v[26:27], v[24:25]
	s_cbranch_execz .LBB7_498
; %bb.495:                              ;   in Loop: Header=BB7_444 Depth=1
	s_mov_b32 s11, 0
	.p2align	6
.LBB7_496:                              ;   Parent Loop BB7_444 Depth=1
                                        ; =>  This Inner Loop Header: Depth=2
	s_sleep 1
	s_clause 0x1
	global_load_b64 v[22:23], v3, s[2:3] offset:40
	global_load_b64 v[30:31], v3, s[2:3]
	v_dual_mov_b32 v24, v26 :: v_dual_mov_b32 v25, v27
	s_waitcnt vmcnt(1)
	s_delay_alu instid0(VALU_DEP_1) | instskip(SKIP_1) | instid1(VALU_DEP_1)
	v_and_b32_e32 v2, v22, v24
	s_waitcnt vmcnt(0)
	v_mad_u64_u32 v[26:27], null, v2, 24, v[30:31]
	v_and_b32_e32 v30, v23, v25
	s_delay_alu instid0(VALU_DEP_2) | instskip(NEXT) | instid1(VALU_DEP_1)
	v_mov_b32_e32 v2, v27
	v_mad_u64_u32 v[22:23], null, v30, 24, v[2:3]
	s_delay_alu instid0(VALU_DEP_1)
	v_mov_b32_e32 v27, v22
	global_load_b64 v[22:23], v[26:27], off glc
	s_waitcnt vmcnt(0)
	global_atomic_cmpswap_b64 v[26:27], v3, v[22:25], s[2:3] offset:24 glc
	s_waitcnt vmcnt(0)
	buffer_gl1_inv
	buffer_gl0_inv
	v_cmp_eq_u64_e32 vcc_lo, v[26:27], v[24:25]
	s_or_b32 s11, vcc_lo, s11
	s_delay_alu instid0(SALU_CYCLE_1)
	s_and_not1_b32 exec_lo, exec_lo, s11
	s_cbranch_execnz .LBB7_496
; %bb.497:                              ;   in Loop: Header=BB7_444 Depth=1
	s_or_b32 exec_lo, exec_lo, s11
.LBB7_498:                              ;   in Loop: Header=BB7_444 Depth=1
	s_delay_alu instid0(SALU_CYCLE_1)
	s_or_b32 exec_lo, exec_lo, s10
.LBB7_499:                              ;   in Loop: Header=BB7_444 Depth=1
	s_delay_alu instid0(SALU_CYCLE_1)
	s_or_b32 exec_lo, exec_lo, s1
	s_clause 0x1
	global_load_b64 v[30:31], v3, s[2:3] offset:40
	global_load_b128 v[22:25], v3, s[2:3]
	v_readfirstlane_b32 s10, v26
	v_readfirstlane_b32 s11, v27
	s_mov_b32 s1, exec_lo
	s_waitcnt vmcnt(1)
	v_readfirstlane_b32 s12, v30
	v_readfirstlane_b32 s13, v31
	s_delay_alu instid0(VALU_DEP_1) | instskip(NEXT) | instid1(SALU_CYCLE_1)
	s_and_b64 s[12:13], s[10:11], s[12:13]
	s_mul_i32 s14, s13, 24
	s_mul_hi_u32 s15, s12, 24
	s_mul_i32 s16, s12, 24
	s_add_i32 s15, s15, s14
	s_waitcnt vmcnt(0)
	v_add_co_u32 v26, vcc_lo, v22, s16
	v_add_co_ci_u32_e32 v27, vcc_lo, s15, v23, vcc_lo
	s_and_saveexec_b32 s14, s0
	s_cbranch_execz .LBB7_501
; %bb.500:                              ;   in Loop: Header=BB7_444 Depth=1
	v_mov_b32_e32 v2, s1
	global_store_b128 v[26:27], v[2:5], off offset:8
.LBB7_501:                              ;   in Loop: Header=BB7_444 Depth=1
	s_or_b32 exec_lo, exec_lo, s14
	s_lshl_b64 s[12:13], s[12:13], 12
	v_or_b32_e32 v2, 2, v6
	v_add_co_u32 v24, vcc_lo, v24, s12
	v_add_co_ci_u32_e32 v25, vcc_lo, s13, v25, vcc_lo
	v_cmp_gt_u64_e64 vcc_lo, s[6:7], 56
	s_lshl_b32 s1, s8, 2
	s_delay_alu instid0(VALU_DEP_3) | instskip(SKIP_4) | instid1(VALU_DEP_1)
	v_readfirstlane_b32 s12, v24
	s_add_i32 s1, s1, 28
	v_readfirstlane_b32 s13, v25
	s_and_b32 s1, s1, 0x1e0
	v_cndmask_b32_e32 v2, v2, v6, vcc_lo
	v_and_or_b32 v6, 0xffffff1f, v2, s1
	s_clause 0x3
	global_store_b128 v28, v[6:9], s[12:13]
	global_store_b128 v28, v[10:13], s[12:13] offset:16
	global_store_b128 v28, v[14:17], s[12:13] offset:32
	;; [unrolled: 1-line block ×3, first 2 shown]
	s_and_saveexec_b32 s1, s0
	s_cbranch_execz .LBB7_509
; %bb.502:                              ;   in Loop: Header=BB7_444 Depth=1
	s_clause 0x1
	global_load_b64 v[14:15], v3, s[2:3] offset:32 glc
	global_load_b64 v[6:7], v3, s[2:3] offset:40
	v_dual_mov_b32 v12, s10 :: v_dual_mov_b32 v13, s11
	s_waitcnt vmcnt(0)
	v_readfirstlane_b32 s12, v6
	v_readfirstlane_b32 s13, v7
	s_delay_alu instid0(VALU_DEP_1) | instskip(NEXT) | instid1(SALU_CYCLE_1)
	s_and_b64 s[12:13], s[12:13], s[10:11]
	s_mul_i32 s13, s13, 24
	s_mul_hi_u32 s14, s12, 24
	s_mul_i32 s12, s12, 24
	s_add_i32 s14, s14, s13
	v_add_co_u32 v10, vcc_lo, v22, s12
	v_add_co_ci_u32_e32 v11, vcc_lo, s14, v23, vcc_lo
	s_mov_b32 s12, exec_lo
	global_store_b64 v[10:11], v[14:15], off
	s_waitcnt_vscnt null, 0x0
	global_atomic_cmpswap_b64 v[8:9], v3, v[12:15], s[2:3] offset:32 glc
	s_waitcnt vmcnt(0)
	v_cmpx_ne_u64_e64 v[8:9], v[14:15]
	s_cbranch_execz .LBB7_505
; %bb.503:                              ;   in Loop: Header=BB7_444 Depth=1
	s_mov_b32 s13, 0
.LBB7_504:                              ;   Parent Loop BB7_444 Depth=1
                                        ; =>  This Inner Loop Header: Depth=2
	v_dual_mov_b32 v6, s10 :: v_dual_mov_b32 v7, s11
	s_sleep 1
	global_store_b64 v[10:11], v[8:9], off
	s_waitcnt_vscnt null, 0x0
	global_atomic_cmpswap_b64 v[6:7], v3, v[6:9], s[2:3] offset:32 glc
	s_waitcnt vmcnt(0)
	v_cmp_eq_u64_e32 vcc_lo, v[6:7], v[8:9]
	v_dual_mov_b32 v9, v7 :: v_dual_mov_b32 v8, v6
	s_or_b32 s13, vcc_lo, s13
	s_delay_alu instid0(SALU_CYCLE_1)
	s_and_not1_b32 exec_lo, exec_lo, s13
	s_cbranch_execnz .LBB7_504
.LBB7_505:                              ;   in Loop: Header=BB7_444 Depth=1
	s_or_b32 exec_lo, exec_lo, s12
	global_load_b64 v[6:7], v3, s[2:3] offset:16
	s_mov_b32 s13, exec_lo
	s_mov_b32 s12, exec_lo
	v_mbcnt_lo_u32_b32 v2, s13, 0
	s_delay_alu instid0(VALU_DEP_1)
	v_cmpx_eq_u32_e32 0, v2
	s_cbranch_execz .LBB7_507
; %bb.506:                              ;   in Loop: Header=BB7_444 Depth=1
	s_bcnt1_i32_b32 s13, s13
	s_delay_alu instid0(SALU_CYCLE_1)
	v_mov_b32_e32 v2, s13
	s_waitcnt vmcnt(0)
	global_atomic_add_u64 v[6:7], v[2:3], off offset:8
.LBB7_507:                              ;   in Loop: Header=BB7_444 Depth=1
	s_or_b32 exec_lo, exec_lo, s12
	s_waitcnt vmcnt(0)
	global_load_b64 v[8:9], v[6:7], off offset:16
	s_waitcnt vmcnt(0)
	v_cmp_eq_u64_e32 vcc_lo, 0, v[8:9]
	s_cbranch_vccnz .LBB7_509
; %bb.508:                              ;   in Loop: Header=BB7_444 Depth=1
	global_load_b32 v2, v[6:7], off offset:24
	s_waitcnt vmcnt(0)
	v_and_b32_e32 v6, 0xffffff, v2
	s_waitcnt_vscnt null, 0x0
	global_store_b64 v[8:9], v[2:3], off
	v_readfirstlane_b32 m0, v6
	s_sendmsg sendmsg(MSG_INTERRUPT)
.LBB7_509:                              ;   in Loop: Header=BB7_444 Depth=1
	s_or_b32 exec_lo, exec_lo, s1
	v_add_co_u32 v6, vcc_lo, v24, v28
	v_add_co_ci_u32_e32 v7, vcc_lo, 0, v25, vcc_lo
	s_branch .LBB7_513
	.p2align	6
.LBB7_510:                              ;   in Loop: Header=BB7_513 Depth=2
	s_or_b32 exec_lo, exec_lo, s1
	s_delay_alu instid0(VALU_DEP_1) | instskip(NEXT) | instid1(VALU_DEP_1)
	v_readfirstlane_b32 s1, v2
	s_cmp_eq_u32 s1, 0
	s_cbranch_scc1 .LBB7_512
; %bb.511:                              ;   in Loop: Header=BB7_513 Depth=2
	s_sleep 1
	s_cbranch_execnz .LBB7_513
	s_branch .LBB7_515
	.p2align	6
.LBB7_512:                              ;   in Loop: Header=BB7_444 Depth=1
	s_branch .LBB7_515
.LBB7_513:                              ;   Parent Loop BB7_444 Depth=1
                                        ; =>  This Inner Loop Header: Depth=2
	v_mov_b32_e32 v2, 1
	s_and_saveexec_b32 s1, s0
	s_cbranch_execz .LBB7_510
; %bb.514:                              ;   in Loop: Header=BB7_513 Depth=2
	global_load_b32 v2, v[26:27], off offset:20 glc
	s_waitcnt vmcnt(0)
	buffer_gl1_inv
	buffer_gl0_inv
	v_and_b32_e32 v2, 1, v2
	s_branch .LBB7_510
.LBB7_515:                              ;   in Loop: Header=BB7_444 Depth=1
	global_load_b128 v[6:9], v[6:7], off
	s_and_saveexec_b32 s1, s0
	s_cbranch_execz .LBB7_443
; %bb.516:                              ;   in Loop: Header=BB7_444 Depth=1
	s_clause 0x2
	global_load_b64 v[10:11], v3, s[2:3] offset:40
	global_load_b64 v[14:15], v3, s[2:3] offset:24 glc
	global_load_b64 v[12:13], v3, s[2:3]
	s_waitcnt vmcnt(2)
	v_add_co_u32 v2, vcc_lo, v10, 1
	v_add_co_ci_u32_e32 v16, vcc_lo, 0, v11, vcc_lo
	s_delay_alu instid0(VALU_DEP_2) | instskip(NEXT) | instid1(VALU_DEP_2)
	v_add_co_u32 v8, vcc_lo, v2, s10
	v_add_co_ci_u32_e32 v9, vcc_lo, s11, v16, vcc_lo
	s_delay_alu instid0(VALU_DEP_1) | instskip(SKIP_1) | instid1(VALU_DEP_1)
	v_cmp_eq_u64_e32 vcc_lo, 0, v[8:9]
	v_dual_cndmask_b32 v9, v9, v16 :: v_dual_cndmask_b32 v8, v8, v2
	v_and_b32_e32 v2, v9, v11
	s_delay_alu instid0(VALU_DEP_2) | instskip(NEXT) | instid1(VALU_DEP_2)
	v_and_b32_e32 v10, v8, v10
	v_mul_lo_u32 v2, v2, 24
	s_delay_alu instid0(VALU_DEP_2) | instskip(SKIP_1) | instid1(VALU_DEP_2)
	v_mul_hi_u32 v11, v10, 24
	v_mul_lo_u32 v10, v10, 24
	v_add_nc_u32_e32 v2, v11, v2
	s_waitcnt vmcnt(1)
	v_mov_b32_e32 v11, v15
	s_waitcnt vmcnt(0)
	s_delay_alu instid0(VALU_DEP_3)
	v_add_co_u32 v12, vcc_lo, v12, v10
	v_mov_b32_e32 v10, v14
	v_add_co_ci_u32_e32 v13, vcc_lo, v13, v2, vcc_lo
	global_store_b64 v[12:13], v[14:15], off
	s_waitcnt_vscnt null, 0x0
	global_atomic_cmpswap_b64 v[10:11], v3, v[8:11], s[2:3] offset:24 glc
	s_waitcnt vmcnt(0)
	v_cmp_ne_u64_e32 vcc_lo, v[10:11], v[14:15]
	s_and_b32 exec_lo, exec_lo, vcc_lo
	s_cbranch_execz .LBB7_443
; %bb.517:                              ;   in Loop: Header=BB7_444 Depth=1
	s_mov_b32 s0, 0
.LBB7_518:                              ;   Parent Loop BB7_444 Depth=1
                                        ; =>  This Inner Loop Header: Depth=2
	s_sleep 1
	global_store_b64 v[12:13], v[10:11], off
	s_waitcnt_vscnt null, 0x0
	global_atomic_cmpswap_b64 v[14:15], v3, v[8:11], s[2:3] offset:24 glc
	s_waitcnt vmcnt(0)
	v_cmp_eq_u64_e32 vcc_lo, v[14:15], v[10:11]
	v_dual_mov_b32 v10, v14 :: v_dual_mov_b32 v11, v15
	s_or_b32 s0, vcc_lo, s0
	s_delay_alu instid0(SALU_CYCLE_1)
	s_and_not1_b32 exec_lo, exec_lo, s0
	s_cbranch_execnz .LBB7_518
	s_branch .LBB7_443
.LBB7_519:
	global_load_b64 v[0:1], v[10:11], off
	s_and_saveexec_b32 s1, s0
	s_cbranch_execz .LBB7_523
; %bb.520:
	v_mov_b32_e32 v8, 0
	s_clause 0x2
	global_load_b64 v[4:5], v8, s[2:3] offset:40
	global_load_b64 v[9:10], v8, s[2:3] offset:24 glc
	global_load_b64 v[6:7], v8, s[2:3]
	s_waitcnt vmcnt(2)
	v_add_co_u32 v11, vcc_lo, v4, 1
	v_add_co_ci_u32_e32 v12, vcc_lo, 0, v5, vcc_lo
	s_delay_alu instid0(VALU_DEP_2) | instskip(NEXT) | instid1(VALU_DEP_2)
	v_add_co_u32 v2, vcc_lo, v11, s4
	v_add_co_ci_u32_e32 v3, vcc_lo, s5, v12, vcc_lo
	s_delay_alu instid0(VALU_DEP_1) | instskip(SKIP_1) | instid1(VALU_DEP_1)
	v_cmp_eq_u64_e32 vcc_lo, 0, v[2:3]
	v_dual_cndmask_b32 v3, v3, v12 :: v_dual_cndmask_b32 v2, v2, v11
	v_and_b32_e32 v5, v3, v5
	s_delay_alu instid0(VALU_DEP_2) | instskip(NEXT) | instid1(VALU_DEP_2)
	v_and_b32_e32 v4, v2, v4
	v_mul_lo_u32 v5, v5, 24
	s_delay_alu instid0(VALU_DEP_2) | instskip(SKIP_1) | instid1(VALU_DEP_2)
	v_mul_hi_u32 v11, v4, 24
	v_mul_lo_u32 v4, v4, 24
	v_add_nc_u32_e32 v5, v11, v5
	s_waitcnt vmcnt(0)
	s_delay_alu instid0(VALU_DEP_2) | instskip(SKIP_1) | instid1(VALU_DEP_3)
	v_add_co_u32 v6, vcc_lo, v6, v4
	v_mov_b32_e32 v4, v9
	v_add_co_ci_u32_e32 v7, vcc_lo, v7, v5, vcc_lo
	v_mov_b32_e32 v5, v10
	global_store_b64 v[6:7], v[9:10], off
	s_waitcnt_vscnt null, 0x0
	global_atomic_cmpswap_b64 v[4:5], v8, v[2:5], s[2:3] offset:24 glc
	s_waitcnt vmcnt(0)
	v_cmp_ne_u64_e32 vcc_lo, v[4:5], v[9:10]
	s_and_b32 exec_lo, exec_lo, vcc_lo
	s_cbranch_execz .LBB7_523
; %bb.521:
	s_mov_b32 s0, 0
.LBB7_522:                              ; =>This Inner Loop Header: Depth=1
	s_sleep 1
	global_store_b64 v[6:7], v[4:5], off
	s_waitcnt_vscnt null, 0x0
	global_atomic_cmpswap_b64 v[9:10], v8, v[2:5], s[2:3] offset:24 glc
	s_waitcnt vmcnt(0)
	v_cmp_eq_u64_e32 vcc_lo, v[9:10], v[4:5]
	v_dual_mov_b32 v4, v9 :: v_dual_mov_b32 v5, v10
	s_or_b32 s0, vcc_lo, s0
	s_delay_alu instid0(SALU_CYCLE_1)
	s_and_not1_b32 exec_lo, exec_lo, s0
	s_cbranch_execnz .LBB7_522
.LBB7_523:
	s_or_b32 exec_lo, exec_lo, s1
	s_getpc_b64 s[4:5]
	s_add_u32 s4, s4, .str.28@rel32@lo+4
	s_addc_u32 s5, s5, .str.28@rel32@hi+12
	s_delay_alu instid0(SALU_CYCLE_1)
	s_cmp_lg_u64 s[4:5], 0
	s_cbranch_scc0 .LBB7_717
; %bb.524:
	s_waitcnt vmcnt(0)
	v_dual_mov_b32 v7, v1 :: v_dual_and_b32 v6, -3, v0
	v_dual_mov_b32 v3, 0 :: v_dual_mov_b32 v4, 2
	v_mov_b32_e32 v5, 1
	s_mov_b64 s[6:7], 35
	s_branch .LBB7_526
.LBB7_525:                              ;   in Loop: Header=BB7_526 Depth=1
	s_or_b32 exec_lo, exec_lo, s1
	s_sub_u32 s6, s6, s8
	s_subb_u32 s7, s7, s9
	s_add_u32 s4, s4, s8
	s_addc_u32 s5, s5, s9
	s_cmp_lg_u64 s[6:7], 0
	s_cbranch_scc0 .LBB7_684
.LBB7_526:                              ; =>This Loop Header: Depth=1
                                        ;     Child Loop BB7_535 Depth 2
                                        ;     Child Loop BB7_531 Depth 2
	;; [unrolled: 1-line block ×11, first 2 shown]
	v_cmp_lt_u64_e64 s0, s[6:7], 56
	v_cmp_gt_u64_e64 s1, s[6:7], 7
                                        ; implicit-def: $sgpr14
	s_delay_alu instid0(VALU_DEP_2) | instskip(SKIP_2) | instid1(VALU_DEP_1)
	s_and_b32 s0, s0, exec_lo
	s_cselect_b32 s9, s7, 0
	s_cselect_b32 s8, s6, 56
	s_and_b32 vcc_lo, exec_lo, s1
	s_mov_b32 s0, -1
	s_cbranch_vccz .LBB7_533
; %bb.527:                              ;   in Loop: Header=BB7_526 Depth=1
	s_and_not1_b32 vcc_lo, exec_lo, s0
	s_mov_b64 s[0:1], s[4:5]
	s_cbranch_vccz .LBB7_537
.LBB7_528:                              ;   in Loop: Header=BB7_526 Depth=1
	s_cmp_gt_u32 s14, 7
	s_cbranch_scc1 .LBB7_538
.LBB7_529:                              ;   in Loop: Header=BB7_526 Depth=1
	v_mov_b32_e32 v10, 0
	v_mov_b32_e32 v11, 0
	s_cmp_eq_u32 s14, 0
	s_cbranch_scc1 .LBB7_532
; %bb.530:                              ;   in Loop: Header=BB7_526 Depth=1
	s_mov_b64 s[10:11], 0
	s_mov_b64 s[12:13], 0
.LBB7_531:                              ;   Parent Loop BB7_526 Depth=1
                                        ; =>  This Inner Loop Header: Depth=2
	s_delay_alu instid0(SALU_CYCLE_1)
	s_add_u32 s30, s0, s12
	s_addc_u32 s31, s1, s13
	s_add_u32 s12, s12, 1
	global_load_u8 v2, v3, s[30:31]
	s_addc_u32 s13, s13, 0
	s_waitcnt vmcnt(0)
	v_and_b32_e32 v2, 0xffff, v2
	s_delay_alu instid0(VALU_DEP_1) | instskip(SKIP_3) | instid1(VALU_DEP_1)
	v_lshlrev_b64 v[12:13], s10, v[2:3]
	s_add_u32 s10, s10, 8
	s_addc_u32 s11, s11, 0
	s_cmp_lg_u32 s14, s12
	v_or_b32_e32 v10, v12, v10
	s_delay_alu instid0(VALU_DEP_2)
	v_or_b32_e32 v11, v13, v11
	s_cbranch_scc1 .LBB7_531
.LBB7_532:                              ;   in Loop: Header=BB7_526 Depth=1
	s_mov_b32 s15, 0
	s_cbranch_execz .LBB7_539
	s_branch .LBB7_540
.LBB7_533:                              ;   in Loop: Header=BB7_526 Depth=1
	s_waitcnt vmcnt(0)
	v_mov_b32_e32 v8, 0
	v_mov_b32_e32 v9, 0
	s_cmp_eq_u64 s[6:7], 0
	s_mov_b64 s[0:1], 0
	s_cbranch_scc1 .LBB7_536
; %bb.534:                              ;   in Loop: Header=BB7_526 Depth=1
	v_mov_b32_e32 v8, 0
	v_mov_b32_e32 v9, 0
	s_lshl_b64 s[10:11], s[8:9], 3
	s_mov_b64 s[12:13], s[4:5]
.LBB7_535:                              ;   Parent Loop BB7_526 Depth=1
                                        ; =>  This Inner Loop Header: Depth=2
	global_load_u8 v2, v3, s[12:13]
	s_waitcnt vmcnt(0)
	v_and_b32_e32 v2, 0xffff, v2
	s_delay_alu instid0(VALU_DEP_1)
	v_lshlrev_b64 v[10:11], s0, v[2:3]
	s_add_u32 s0, s0, 8
	s_addc_u32 s1, s1, 0
	s_add_u32 s12, s12, 1
	s_addc_u32 s13, s13, 0
	s_cmp_lg_u32 s10, s0
	v_or_b32_e32 v8, v10, v8
	v_or_b32_e32 v9, v11, v9
	s_cbranch_scc1 .LBB7_535
.LBB7_536:                              ;   in Loop: Header=BB7_526 Depth=1
	s_mov_b32 s14, 0
	s_mov_b64 s[0:1], s[4:5]
	s_cbranch_execnz .LBB7_528
.LBB7_537:                              ;   in Loop: Header=BB7_526 Depth=1
	global_load_b64 v[8:9], v3, s[4:5]
	s_add_i32 s14, s8, -8
	s_add_u32 s0, s4, 8
	s_addc_u32 s1, s5, 0
	s_cmp_gt_u32 s14, 7
	s_cbranch_scc0 .LBB7_529
.LBB7_538:                              ;   in Loop: Header=BB7_526 Depth=1
                                        ; implicit-def: $vgpr10_vgpr11
                                        ; implicit-def: $sgpr15
.LBB7_539:                              ;   in Loop: Header=BB7_526 Depth=1
	global_load_b64 v[10:11], v3, s[0:1]
	s_add_i32 s15, s14, -8
	s_add_u32 s0, s0, 8
	s_addc_u32 s1, s1, 0
.LBB7_540:                              ;   in Loop: Header=BB7_526 Depth=1
	s_cmp_gt_u32 s15, 7
	s_cbranch_scc1 .LBB7_545
; %bb.541:                              ;   in Loop: Header=BB7_526 Depth=1
	v_mov_b32_e32 v12, 0
	v_mov_b32_e32 v13, 0
	s_cmp_eq_u32 s15, 0
	s_cbranch_scc1 .LBB7_544
; %bb.542:                              ;   in Loop: Header=BB7_526 Depth=1
	s_mov_b64 s[10:11], 0
	s_mov_b64 s[12:13], 0
.LBB7_543:                              ;   Parent Loop BB7_526 Depth=1
                                        ; =>  This Inner Loop Header: Depth=2
	s_delay_alu instid0(SALU_CYCLE_1)
	s_add_u32 s30, s0, s12
	s_addc_u32 s31, s1, s13
	s_add_u32 s12, s12, 1
	global_load_u8 v2, v3, s[30:31]
	s_addc_u32 s13, s13, 0
	s_waitcnt vmcnt(0)
	v_and_b32_e32 v2, 0xffff, v2
	s_delay_alu instid0(VALU_DEP_1) | instskip(SKIP_3) | instid1(VALU_DEP_1)
	v_lshlrev_b64 v[14:15], s10, v[2:3]
	s_add_u32 s10, s10, 8
	s_addc_u32 s11, s11, 0
	s_cmp_lg_u32 s15, s12
	v_or_b32_e32 v12, v14, v12
	s_delay_alu instid0(VALU_DEP_2)
	v_or_b32_e32 v13, v15, v13
	s_cbranch_scc1 .LBB7_543
.LBB7_544:                              ;   in Loop: Header=BB7_526 Depth=1
	s_mov_b32 s14, 0
	s_cbranch_execz .LBB7_546
	s_branch .LBB7_547
.LBB7_545:                              ;   in Loop: Header=BB7_526 Depth=1
                                        ; implicit-def: $sgpr14
.LBB7_546:                              ;   in Loop: Header=BB7_526 Depth=1
	global_load_b64 v[12:13], v3, s[0:1]
	s_add_i32 s14, s15, -8
	s_add_u32 s0, s0, 8
	s_addc_u32 s1, s1, 0
.LBB7_547:                              ;   in Loop: Header=BB7_526 Depth=1
	s_cmp_gt_u32 s14, 7
	s_cbranch_scc1 .LBB7_552
; %bb.548:                              ;   in Loop: Header=BB7_526 Depth=1
	v_mov_b32_e32 v14, 0
	v_mov_b32_e32 v15, 0
	s_cmp_eq_u32 s14, 0
	s_cbranch_scc1 .LBB7_551
; %bb.549:                              ;   in Loop: Header=BB7_526 Depth=1
	s_mov_b64 s[10:11], 0
	s_mov_b64 s[12:13], 0
.LBB7_550:                              ;   Parent Loop BB7_526 Depth=1
                                        ; =>  This Inner Loop Header: Depth=2
	s_delay_alu instid0(SALU_CYCLE_1)
	s_add_u32 s30, s0, s12
	s_addc_u32 s31, s1, s13
	s_add_u32 s12, s12, 1
	global_load_u8 v2, v3, s[30:31]
	s_addc_u32 s13, s13, 0
	s_waitcnt vmcnt(0)
	v_and_b32_e32 v2, 0xffff, v2
	s_delay_alu instid0(VALU_DEP_1) | instskip(SKIP_3) | instid1(VALU_DEP_1)
	v_lshlrev_b64 v[16:17], s10, v[2:3]
	s_add_u32 s10, s10, 8
	s_addc_u32 s11, s11, 0
	s_cmp_lg_u32 s14, s12
	v_or_b32_e32 v14, v16, v14
	s_delay_alu instid0(VALU_DEP_2)
	v_or_b32_e32 v15, v17, v15
	s_cbranch_scc1 .LBB7_550
.LBB7_551:                              ;   in Loop: Header=BB7_526 Depth=1
	s_mov_b32 s15, 0
	s_cbranch_execz .LBB7_553
	s_branch .LBB7_554
.LBB7_552:                              ;   in Loop: Header=BB7_526 Depth=1
                                        ; implicit-def: $vgpr14_vgpr15
                                        ; implicit-def: $sgpr15
.LBB7_553:                              ;   in Loop: Header=BB7_526 Depth=1
	global_load_b64 v[14:15], v3, s[0:1]
	s_add_i32 s15, s14, -8
	s_add_u32 s0, s0, 8
	s_addc_u32 s1, s1, 0
.LBB7_554:                              ;   in Loop: Header=BB7_526 Depth=1
	s_cmp_gt_u32 s15, 7
	s_cbranch_scc1 .LBB7_559
; %bb.555:                              ;   in Loop: Header=BB7_526 Depth=1
	v_mov_b32_e32 v16, 0
	v_mov_b32_e32 v17, 0
	s_cmp_eq_u32 s15, 0
	s_cbranch_scc1 .LBB7_558
; %bb.556:                              ;   in Loop: Header=BB7_526 Depth=1
	s_mov_b64 s[10:11], 0
	s_mov_b64 s[12:13], 0
.LBB7_557:                              ;   Parent Loop BB7_526 Depth=1
                                        ; =>  This Inner Loop Header: Depth=2
	s_delay_alu instid0(SALU_CYCLE_1)
	s_add_u32 s30, s0, s12
	s_addc_u32 s31, s1, s13
	s_add_u32 s12, s12, 1
	global_load_u8 v2, v3, s[30:31]
	s_addc_u32 s13, s13, 0
	s_waitcnt vmcnt(0)
	v_and_b32_e32 v2, 0xffff, v2
	s_delay_alu instid0(VALU_DEP_1) | instskip(SKIP_3) | instid1(VALU_DEP_1)
	v_lshlrev_b64 v[18:19], s10, v[2:3]
	s_add_u32 s10, s10, 8
	s_addc_u32 s11, s11, 0
	s_cmp_lg_u32 s15, s12
	v_or_b32_e32 v16, v18, v16
	s_delay_alu instid0(VALU_DEP_2)
	v_or_b32_e32 v17, v19, v17
	s_cbranch_scc1 .LBB7_557
.LBB7_558:                              ;   in Loop: Header=BB7_526 Depth=1
	s_mov_b32 s14, 0
	s_cbranch_execz .LBB7_560
	s_branch .LBB7_561
.LBB7_559:                              ;   in Loop: Header=BB7_526 Depth=1
                                        ; implicit-def: $sgpr14
.LBB7_560:                              ;   in Loop: Header=BB7_526 Depth=1
	global_load_b64 v[16:17], v3, s[0:1]
	s_add_i32 s14, s15, -8
	s_add_u32 s0, s0, 8
	s_addc_u32 s1, s1, 0
.LBB7_561:                              ;   in Loop: Header=BB7_526 Depth=1
	s_cmp_gt_u32 s14, 7
	s_cbranch_scc1 .LBB7_566
; %bb.562:                              ;   in Loop: Header=BB7_526 Depth=1
	v_mov_b32_e32 v18, 0
	v_mov_b32_e32 v19, 0
	s_cmp_eq_u32 s14, 0
	s_cbranch_scc1 .LBB7_565
; %bb.563:                              ;   in Loop: Header=BB7_526 Depth=1
	s_mov_b64 s[10:11], 0
	s_mov_b64 s[12:13], 0
.LBB7_564:                              ;   Parent Loop BB7_526 Depth=1
                                        ; =>  This Inner Loop Header: Depth=2
	s_delay_alu instid0(SALU_CYCLE_1)
	s_add_u32 s30, s0, s12
	s_addc_u32 s31, s1, s13
	s_add_u32 s12, s12, 1
	global_load_u8 v2, v3, s[30:31]
	s_addc_u32 s13, s13, 0
	s_waitcnt vmcnt(0)
	v_and_b32_e32 v2, 0xffff, v2
	s_delay_alu instid0(VALU_DEP_1) | instskip(SKIP_3) | instid1(VALU_DEP_1)
	v_lshlrev_b64 v[20:21], s10, v[2:3]
	s_add_u32 s10, s10, 8
	s_addc_u32 s11, s11, 0
	s_cmp_lg_u32 s14, s12
	v_or_b32_e32 v18, v20, v18
	s_delay_alu instid0(VALU_DEP_2)
	v_or_b32_e32 v19, v21, v19
	s_cbranch_scc1 .LBB7_564
.LBB7_565:                              ;   in Loop: Header=BB7_526 Depth=1
	s_mov_b32 s15, 0
	s_cbranch_execz .LBB7_567
	s_branch .LBB7_568
.LBB7_566:                              ;   in Loop: Header=BB7_526 Depth=1
                                        ; implicit-def: $vgpr18_vgpr19
                                        ; implicit-def: $sgpr15
.LBB7_567:                              ;   in Loop: Header=BB7_526 Depth=1
	global_load_b64 v[18:19], v3, s[0:1]
	s_add_i32 s15, s14, -8
	s_add_u32 s0, s0, 8
	s_addc_u32 s1, s1, 0
.LBB7_568:                              ;   in Loop: Header=BB7_526 Depth=1
	s_cmp_gt_u32 s15, 7
	s_cbranch_scc1 .LBB7_573
; %bb.569:                              ;   in Loop: Header=BB7_526 Depth=1
	v_mov_b32_e32 v20, 0
	v_mov_b32_e32 v21, 0
	s_cmp_eq_u32 s15, 0
	s_cbranch_scc1 .LBB7_572
; %bb.570:                              ;   in Loop: Header=BB7_526 Depth=1
	s_mov_b64 s[10:11], 0
	s_mov_b64 s[12:13], s[0:1]
.LBB7_571:                              ;   Parent Loop BB7_526 Depth=1
                                        ; =>  This Inner Loop Header: Depth=2
	global_load_u8 v2, v3, s[12:13]
	s_add_i32 s15, s15, -1
	s_waitcnt vmcnt(0)
	v_and_b32_e32 v2, 0xffff, v2
	s_delay_alu instid0(VALU_DEP_1)
	v_lshlrev_b64 v[22:23], s10, v[2:3]
	s_add_u32 s10, s10, 8
	s_addc_u32 s11, s11, 0
	s_add_u32 s12, s12, 1
	s_addc_u32 s13, s13, 0
	s_cmp_lg_u32 s15, 0
	v_or_b32_e32 v20, v22, v20
	v_or_b32_e32 v21, v23, v21
	s_cbranch_scc1 .LBB7_571
.LBB7_572:                              ;   in Loop: Header=BB7_526 Depth=1
	s_cbranch_execz .LBB7_574
	s_branch .LBB7_575
.LBB7_573:                              ;   in Loop: Header=BB7_526 Depth=1
.LBB7_574:                              ;   in Loop: Header=BB7_526 Depth=1
	global_load_b64 v[20:21], v3, s[0:1]
.LBB7_575:                              ;   in Loop: Header=BB7_526 Depth=1
	v_readfirstlane_b32 s0, v29
	v_mov_b32_e32 v26, 0
	v_mov_b32_e32 v27, 0
	s_delay_alu instid0(VALU_DEP_3) | instskip(NEXT) | instid1(VALU_DEP_1)
	v_cmp_eq_u32_e64 s0, s0, v29
	s_and_saveexec_b32 s1, s0
	s_cbranch_execz .LBB7_581
; %bb.576:                              ;   in Loop: Header=BB7_526 Depth=1
	global_load_b64 v[24:25], v3, s[2:3] offset:24 glc
	s_waitcnt vmcnt(0)
	buffer_gl1_inv
	buffer_gl0_inv
	s_clause 0x1
	global_load_b64 v[22:23], v3, s[2:3] offset:40
	global_load_b64 v[26:27], v3, s[2:3]
	s_mov_b32 s10, exec_lo
	s_waitcnt vmcnt(1)
	v_and_b32_e32 v2, v23, v25
	v_and_b32_e32 v22, v22, v24
	s_delay_alu instid0(VALU_DEP_2) | instskip(NEXT) | instid1(VALU_DEP_2)
	v_mul_lo_u32 v2, v2, 24
	v_mul_hi_u32 v23, v22, 24
	v_mul_lo_u32 v22, v22, 24
	s_delay_alu instid0(VALU_DEP_2) | instskip(SKIP_1) | instid1(VALU_DEP_2)
	v_add_nc_u32_e32 v2, v23, v2
	s_waitcnt vmcnt(0)
	v_add_co_u32 v22, vcc_lo, v26, v22
	s_delay_alu instid0(VALU_DEP_2)
	v_add_co_ci_u32_e32 v23, vcc_lo, v27, v2, vcc_lo
	global_load_b64 v[22:23], v[22:23], off glc
	s_waitcnt vmcnt(0)
	global_atomic_cmpswap_b64 v[26:27], v3, v[22:25], s[2:3] offset:24 glc
	s_waitcnt vmcnt(0)
	buffer_gl1_inv
	buffer_gl0_inv
	v_cmpx_ne_u64_e64 v[26:27], v[24:25]
	s_cbranch_execz .LBB7_580
; %bb.577:                              ;   in Loop: Header=BB7_526 Depth=1
	s_mov_b32 s11, 0
	.p2align	6
.LBB7_578:                              ;   Parent Loop BB7_526 Depth=1
                                        ; =>  This Inner Loop Header: Depth=2
	s_sleep 1
	s_clause 0x1
	global_load_b64 v[22:23], v3, s[2:3] offset:40
	global_load_b64 v[30:31], v3, s[2:3]
	v_dual_mov_b32 v24, v26 :: v_dual_mov_b32 v25, v27
	s_waitcnt vmcnt(1)
	s_delay_alu instid0(VALU_DEP_1) | instskip(SKIP_1) | instid1(VALU_DEP_1)
	v_and_b32_e32 v2, v22, v24
	s_waitcnt vmcnt(0)
	v_mad_u64_u32 v[26:27], null, v2, 24, v[30:31]
	v_and_b32_e32 v30, v23, v25
	s_delay_alu instid0(VALU_DEP_2) | instskip(NEXT) | instid1(VALU_DEP_1)
	v_mov_b32_e32 v2, v27
	v_mad_u64_u32 v[22:23], null, v30, 24, v[2:3]
	s_delay_alu instid0(VALU_DEP_1)
	v_mov_b32_e32 v27, v22
	global_load_b64 v[22:23], v[26:27], off glc
	s_waitcnt vmcnt(0)
	global_atomic_cmpswap_b64 v[26:27], v3, v[22:25], s[2:3] offset:24 glc
	s_waitcnt vmcnt(0)
	buffer_gl1_inv
	buffer_gl0_inv
	v_cmp_eq_u64_e32 vcc_lo, v[26:27], v[24:25]
	s_or_b32 s11, vcc_lo, s11
	s_delay_alu instid0(SALU_CYCLE_1)
	s_and_not1_b32 exec_lo, exec_lo, s11
	s_cbranch_execnz .LBB7_578
; %bb.579:                              ;   in Loop: Header=BB7_526 Depth=1
	s_or_b32 exec_lo, exec_lo, s11
.LBB7_580:                              ;   in Loop: Header=BB7_526 Depth=1
	s_delay_alu instid0(SALU_CYCLE_1)
	s_or_b32 exec_lo, exec_lo, s10
.LBB7_581:                              ;   in Loop: Header=BB7_526 Depth=1
	s_delay_alu instid0(SALU_CYCLE_1)
	s_or_b32 exec_lo, exec_lo, s1
	s_clause 0x1
	global_load_b64 v[30:31], v3, s[2:3] offset:40
	global_load_b128 v[22:25], v3, s[2:3]
	v_readfirstlane_b32 s10, v26
	v_readfirstlane_b32 s11, v27
	s_mov_b32 s1, exec_lo
	s_waitcnt vmcnt(1)
	v_readfirstlane_b32 s12, v30
	v_readfirstlane_b32 s13, v31
	s_delay_alu instid0(VALU_DEP_1) | instskip(NEXT) | instid1(SALU_CYCLE_1)
	s_and_b64 s[12:13], s[10:11], s[12:13]
	s_mul_i32 s14, s13, 24
	s_mul_hi_u32 s15, s12, 24
	s_mul_i32 s16, s12, 24
	s_add_i32 s15, s15, s14
	s_waitcnt vmcnt(0)
	v_add_co_u32 v26, vcc_lo, v22, s16
	v_add_co_ci_u32_e32 v27, vcc_lo, s15, v23, vcc_lo
	s_and_saveexec_b32 s14, s0
	s_cbranch_execz .LBB7_583
; %bb.582:                              ;   in Loop: Header=BB7_526 Depth=1
	v_mov_b32_e32 v2, s1
	global_store_b128 v[26:27], v[2:5], off offset:8
.LBB7_583:                              ;   in Loop: Header=BB7_526 Depth=1
	s_or_b32 exec_lo, exec_lo, s14
	s_lshl_b64 s[12:13], s[12:13], 12
	v_or_b32_e32 v2, 2, v6
	v_add_co_u32 v24, vcc_lo, v24, s12
	v_add_co_ci_u32_e32 v25, vcc_lo, s13, v25, vcc_lo
	v_cmp_gt_u64_e64 vcc_lo, s[6:7], 56
	s_lshl_b32 s1, s8, 2
	s_delay_alu instid0(VALU_DEP_3) | instskip(SKIP_4) | instid1(VALU_DEP_1)
	v_readfirstlane_b32 s12, v24
	s_add_i32 s1, s1, 28
	v_readfirstlane_b32 s13, v25
	s_and_b32 s1, s1, 0x1e0
	v_cndmask_b32_e32 v2, v2, v6, vcc_lo
	v_and_or_b32 v6, 0xffffff1f, v2, s1
	s_clause 0x3
	global_store_b128 v28, v[6:9], s[12:13]
	global_store_b128 v28, v[10:13], s[12:13] offset:16
	global_store_b128 v28, v[14:17], s[12:13] offset:32
	;; [unrolled: 1-line block ×3, first 2 shown]
	s_and_saveexec_b32 s1, s0
	s_cbranch_execz .LBB7_591
; %bb.584:                              ;   in Loop: Header=BB7_526 Depth=1
	s_clause 0x1
	global_load_b64 v[14:15], v3, s[2:3] offset:32 glc
	global_load_b64 v[6:7], v3, s[2:3] offset:40
	v_dual_mov_b32 v12, s10 :: v_dual_mov_b32 v13, s11
	s_waitcnt vmcnt(0)
	v_readfirstlane_b32 s12, v6
	v_readfirstlane_b32 s13, v7
	s_delay_alu instid0(VALU_DEP_1) | instskip(NEXT) | instid1(SALU_CYCLE_1)
	s_and_b64 s[12:13], s[12:13], s[10:11]
	s_mul_i32 s13, s13, 24
	s_mul_hi_u32 s14, s12, 24
	s_mul_i32 s12, s12, 24
	s_add_i32 s14, s14, s13
	v_add_co_u32 v10, vcc_lo, v22, s12
	v_add_co_ci_u32_e32 v11, vcc_lo, s14, v23, vcc_lo
	s_mov_b32 s12, exec_lo
	global_store_b64 v[10:11], v[14:15], off
	s_waitcnt_vscnt null, 0x0
	global_atomic_cmpswap_b64 v[8:9], v3, v[12:15], s[2:3] offset:32 glc
	s_waitcnt vmcnt(0)
	v_cmpx_ne_u64_e64 v[8:9], v[14:15]
	s_cbranch_execz .LBB7_587
; %bb.585:                              ;   in Loop: Header=BB7_526 Depth=1
	s_mov_b32 s13, 0
.LBB7_586:                              ;   Parent Loop BB7_526 Depth=1
                                        ; =>  This Inner Loop Header: Depth=2
	v_dual_mov_b32 v6, s10 :: v_dual_mov_b32 v7, s11
	s_sleep 1
	global_store_b64 v[10:11], v[8:9], off
	s_waitcnt_vscnt null, 0x0
	global_atomic_cmpswap_b64 v[6:7], v3, v[6:9], s[2:3] offset:32 glc
	s_waitcnt vmcnt(0)
	v_cmp_eq_u64_e32 vcc_lo, v[6:7], v[8:9]
	v_dual_mov_b32 v9, v7 :: v_dual_mov_b32 v8, v6
	s_or_b32 s13, vcc_lo, s13
	s_delay_alu instid0(SALU_CYCLE_1)
	s_and_not1_b32 exec_lo, exec_lo, s13
	s_cbranch_execnz .LBB7_586
.LBB7_587:                              ;   in Loop: Header=BB7_526 Depth=1
	s_or_b32 exec_lo, exec_lo, s12
	global_load_b64 v[6:7], v3, s[2:3] offset:16
	s_mov_b32 s13, exec_lo
	s_mov_b32 s12, exec_lo
	v_mbcnt_lo_u32_b32 v2, s13, 0
	s_delay_alu instid0(VALU_DEP_1)
	v_cmpx_eq_u32_e32 0, v2
	s_cbranch_execz .LBB7_589
; %bb.588:                              ;   in Loop: Header=BB7_526 Depth=1
	s_bcnt1_i32_b32 s13, s13
	s_delay_alu instid0(SALU_CYCLE_1)
	v_mov_b32_e32 v2, s13
	s_waitcnt vmcnt(0)
	global_atomic_add_u64 v[6:7], v[2:3], off offset:8
.LBB7_589:                              ;   in Loop: Header=BB7_526 Depth=1
	s_or_b32 exec_lo, exec_lo, s12
	s_waitcnt vmcnt(0)
	global_load_b64 v[8:9], v[6:7], off offset:16
	s_waitcnt vmcnt(0)
	v_cmp_eq_u64_e32 vcc_lo, 0, v[8:9]
	s_cbranch_vccnz .LBB7_591
; %bb.590:                              ;   in Loop: Header=BB7_526 Depth=1
	global_load_b32 v2, v[6:7], off offset:24
	s_waitcnt vmcnt(0)
	v_and_b32_e32 v6, 0xffffff, v2
	s_waitcnt_vscnt null, 0x0
	global_store_b64 v[8:9], v[2:3], off
	v_readfirstlane_b32 m0, v6
	s_sendmsg sendmsg(MSG_INTERRUPT)
.LBB7_591:                              ;   in Loop: Header=BB7_526 Depth=1
	s_or_b32 exec_lo, exec_lo, s1
	v_add_co_u32 v6, vcc_lo, v24, v28
	v_add_co_ci_u32_e32 v7, vcc_lo, 0, v25, vcc_lo
	s_branch .LBB7_595
	.p2align	6
.LBB7_592:                              ;   in Loop: Header=BB7_595 Depth=2
	s_or_b32 exec_lo, exec_lo, s1
	s_delay_alu instid0(VALU_DEP_1) | instskip(NEXT) | instid1(VALU_DEP_1)
	v_readfirstlane_b32 s1, v2
	s_cmp_eq_u32 s1, 0
	s_cbranch_scc1 .LBB7_594
; %bb.593:                              ;   in Loop: Header=BB7_595 Depth=2
	s_sleep 1
	s_cbranch_execnz .LBB7_595
	s_branch .LBB7_597
	.p2align	6
.LBB7_594:                              ;   in Loop: Header=BB7_526 Depth=1
	s_branch .LBB7_597
.LBB7_595:                              ;   Parent Loop BB7_526 Depth=1
                                        ; =>  This Inner Loop Header: Depth=2
	v_mov_b32_e32 v2, 1
	s_and_saveexec_b32 s1, s0
	s_cbranch_execz .LBB7_592
; %bb.596:                              ;   in Loop: Header=BB7_595 Depth=2
	global_load_b32 v2, v[26:27], off offset:20 glc
	s_waitcnt vmcnt(0)
	buffer_gl1_inv
	buffer_gl0_inv
	v_and_b32_e32 v2, 1, v2
	s_branch .LBB7_592
.LBB7_597:                              ;   in Loop: Header=BB7_526 Depth=1
	global_load_b128 v[6:9], v[6:7], off
	s_and_saveexec_b32 s1, s0
	s_cbranch_execz .LBB7_525
; %bb.598:                              ;   in Loop: Header=BB7_526 Depth=1
	s_clause 0x2
	global_load_b64 v[10:11], v3, s[2:3] offset:40
	global_load_b64 v[14:15], v3, s[2:3] offset:24 glc
	global_load_b64 v[12:13], v3, s[2:3]
	s_waitcnt vmcnt(2)
	v_add_co_u32 v2, vcc_lo, v10, 1
	v_add_co_ci_u32_e32 v16, vcc_lo, 0, v11, vcc_lo
	s_delay_alu instid0(VALU_DEP_2) | instskip(NEXT) | instid1(VALU_DEP_2)
	v_add_co_u32 v8, vcc_lo, v2, s10
	v_add_co_ci_u32_e32 v9, vcc_lo, s11, v16, vcc_lo
	s_delay_alu instid0(VALU_DEP_1) | instskip(SKIP_1) | instid1(VALU_DEP_1)
	v_cmp_eq_u64_e32 vcc_lo, 0, v[8:9]
	v_dual_cndmask_b32 v9, v9, v16 :: v_dual_cndmask_b32 v8, v8, v2
	v_and_b32_e32 v2, v9, v11
	s_delay_alu instid0(VALU_DEP_2) | instskip(NEXT) | instid1(VALU_DEP_2)
	v_and_b32_e32 v10, v8, v10
	v_mul_lo_u32 v2, v2, 24
	s_delay_alu instid0(VALU_DEP_2) | instskip(SKIP_1) | instid1(VALU_DEP_2)
	v_mul_hi_u32 v11, v10, 24
	v_mul_lo_u32 v10, v10, 24
	v_add_nc_u32_e32 v2, v11, v2
	s_waitcnt vmcnt(1)
	v_mov_b32_e32 v11, v15
	s_waitcnt vmcnt(0)
	s_delay_alu instid0(VALU_DEP_3)
	v_add_co_u32 v12, vcc_lo, v12, v10
	v_mov_b32_e32 v10, v14
	v_add_co_ci_u32_e32 v13, vcc_lo, v13, v2, vcc_lo
	global_store_b64 v[12:13], v[14:15], off
	s_waitcnt_vscnt null, 0x0
	global_atomic_cmpswap_b64 v[10:11], v3, v[8:11], s[2:3] offset:24 glc
	s_waitcnt vmcnt(0)
	v_cmp_ne_u64_e32 vcc_lo, v[10:11], v[14:15]
	s_and_b32 exec_lo, exec_lo, vcc_lo
	s_cbranch_execz .LBB7_525
; %bb.599:                              ;   in Loop: Header=BB7_526 Depth=1
	s_mov_b32 s0, 0
.LBB7_600:                              ;   Parent Loop BB7_526 Depth=1
                                        ; =>  This Inner Loop Header: Depth=2
	s_sleep 1
	global_store_b64 v[12:13], v[10:11], off
	s_waitcnt_vscnt null, 0x0
	global_atomic_cmpswap_b64 v[14:15], v3, v[8:11], s[2:3] offset:24 glc
	s_waitcnt vmcnt(0)
	v_cmp_eq_u64_e32 vcc_lo, v[14:15], v[10:11]
	v_dual_mov_b32 v10, v14 :: v_dual_mov_b32 v11, v15
	s_or_b32 s0, vcc_lo, s0
	s_delay_alu instid0(SALU_CYCLE_1)
	s_and_not1_b32 exec_lo, exec_lo, s0
	s_cbranch_execnz .LBB7_600
	s_branch .LBB7_525
.LBB7_601:
	global_load_b64 v[0:1], v[10:11], off
	s_and_saveexec_b32 s1, s0
	s_cbranch_execz .LBB7_605
; %bb.602:
	v_mov_b32_e32 v8, 0
	s_clause 0x2
	global_load_b64 v[4:5], v8, s[2:3] offset:40
	global_load_b64 v[9:10], v8, s[2:3] offset:24 glc
	global_load_b64 v[6:7], v8, s[2:3]
	s_waitcnt vmcnt(2)
	v_add_co_u32 v11, vcc_lo, v4, 1
	v_add_co_ci_u32_e32 v12, vcc_lo, 0, v5, vcc_lo
	s_delay_alu instid0(VALU_DEP_2) | instskip(NEXT) | instid1(VALU_DEP_2)
	v_add_co_u32 v2, vcc_lo, v11, s4
	v_add_co_ci_u32_e32 v3, vcc_lo, s5, v12, vcc_lo
	s_delay_alu instid0(VALU_DEP_1) | instskip(SKIP_1) | instid1(VALU_DEP_1)
	v_cmp_eq_u64_e32 vcc_lo, 0, v[2:3]
	v_dual_cndmask_b32 v3, v3, v12 :: v_dual_cndmask_b32 v2, v2, v11
	v_and_b32_e32 v5, v3, v5
	s_delay_alu instid0(VALU_DEP_2) | instskip(NEXT) | instid1(VALU_DEP_2)
	v_and_b32_e32 v4, v2, v4
	v_mul_lo_u32 v5, v5, 24
	s_delay_alu instid0(VALU_DEP_2) | instskip(SKIP_1) | instid1(VALU_DEP_2)
	v_mul_hi_u32 v11, v4, 24
	v_mul_lo_u32 v4, v4, 24
	v_add_nc_u32_e32 v5, v11, v5
	s_waitcnt vmcnt(0)
	s_delay_alu instid0(VALU_DEP_2) | instskip(SKIP_1) | instid1(VALU_DEP_3)
	v_add_co_u32 v6, vcc_lo, v6, v4
	v_mov_b32_e32 v4, v9
	v_add_co_ci_u32_e32 v7, vcc_lo, v7, v5, vcc_lo
	v_mov_b32_e32 v5, v10
	global_store_b64 v[6:7], v[9:10], off
	s_waitcnt_vscnt null, 0x0
	global_atomic_cmpswap_b64 v[4:5], v8, v[2:5], s[2:3] offset:24 glc
	s_waitcnt vmcnt(0)
	v_cmp_ne_u64_e32 vcc_lo, v[4:5], v[9:10]
	s_and_b32 exec_lo, exec_lo, vcc_lo
	s_cbranch_execz .LBB7_605
; %bb.603:
	s_mov_b32 s0, 0
.LBB7_604:                              ; =>This Inner Loop Header: Depth=1
	s_sleep 1
	global_store_b64 v[6:7], v[4:5], off
	s_waitcnt_vscnt null, 0x0
	global_atomic_cmpswap_b64 v[9:10], v8, v[2:5], s[2:3] offset:24 glc
	s_waitcnt vmcnt(0)
	v_cmp_eq_u64_e32 vcc_lo, v[9:10], v[4:5]
	v_dual_mov_b32 v4, v9 :: v_dual_mov_b32 v5, v10
	s_or_b32 s0, vcc_lo, s0
	s_delay_alu instid0(SALU_CYCLE_1)
	s_and_not1_b32 exec_lo, exec_lo, s0
	s_cbranch_execnz .LBB7_604
.LBB7_605:
	s_or_b32 exec_lo, exec_lo, s1
	s_getpc_b64 s[4:5]
	s_add_u32 s4, s4, .str.28@rel32@lo+4
	s_addc_u32 s5, s5, .str.28@rel32@hi+12
	s_delay_alu instid0(SALU_CYCLE_1)
	s_cmp_lg_u64 s[4:5], 0
	s_cbranch_scc0 .LBB7_747
; %bb.606:
	s_waitcnt vmcnt(0)
	v_dual_mov_b32 v7, v1 :: v_dual_and_b32 v6, -3, v0
	v_dual_mov_b32 v3, 0 :: v_dual_mov_b32 v4, 2
	v_mov_b32_e32 v5, 1
	s_mov_b64 s[6:7], 35
	s_branch .LBB7_608
.LBB7_607:                              ;   in Loop: Header=BB7_608 Depth=1
	s_or_b32 exec_lo, exec_lo, s1
	s_sub_u32 s6, s6, s8
	s_subb_u32 s7, s7, s9
	s_add_u32 s4, s4, s8
	s_addc_u32 s5, s5, s9
	s_cmp_lg_u64 s[6:7], 0
	s_cbranch_scc0 .LBB7_685
.LBB7_608:                              ; =>This Loop Header: Depth=1
                                        ;     Child Loop BB7_617 Depth 2
                                        ;     Child Loop BB7_613 Depth 2
	;; [unrolled: 1-line block ×11, first 2 shown]
	v_cmp_lt_u64_e64 s0, s[6:7], 56
	v_cmp_gt_u64_e64 s1, s[6:7], 7
                                        ; implicit-def: $sgpr14
	s_delay_alu instid0(VALU_DEP_2) | instskip(SKIP_2) | instid1(VALU_DEP_1)
	s_and_b32 s0, s0, exec_lo
	s_cselect_b32 s9, s7, 0
	s_cselect_b32 s8, s6, 56
	s_and_b32 vcc_lo, exec_lo, s1
	s_mov_b32 s0, -1
	s_cbranch_vccz .LBB7_615
; %bb.609:                              ;   in Loop: Header=BB7_608 Depth=1
	s_and_not1_b32 vcc_lo, exec_lo, s0
	s_mov_b64 s[0:1], s[4:5]
	s_cbranch_vccz .LBB7_619
.LBB7_610:                              ;   in Loop: Header=BB7_608 Depth=1
	s_cmp_gt_u32 s14, 7
	s_cbranch_scc1 .LBB7_620
.LBB7_611:                              ;   in Loop: Header=BB7_608 Depth=1
	v_mov_b32_e32 v10, 0
	v_mov_b32_e32 v11, 0
	s_cmp_eq_u32 s14, 0
	s_cbranch_scc1 .LBB7_614
; %bb.612:                              ;   in Loop: Header=BB7_608 Depth=1
	s_mov_b64 s[10:11], 0
	s_mov_b64 s[12:13], 0
.LBB7_613:                              ;   Parent Loop BB7_608 Depth=1
                                        ; =>  This Inner Loop Header: Depth=2
	s_delay_alu instid0(SALU_CYCLE_1)
	s_add_u32 s28, s0, s12
	s_addc_u32 s29, s1, s13
	s_add_u32 s12, s12, 1
	global_load_u8 v2, v3, s[28:29]
	s_addc_u32 s13, s13, 0
	s_waitcnt vmcnt(0)
	v_and_b32_e32 v2, 0xffff, v2
	s_delay_alu instid0(VALU_DEP_1) | instskip(SKIP_3) | instid1(VALU_DEP_1)
	v_lshlrev_b64 v[12:13], s10, v[2:3]
	s_add_u32 s10, s10, 8
	s_addc_u32 s11, s11, 0
	s_cmp_lg_u32 s14, s12
	v_or_b32_e32 v10, v12, v10
	s_delay_alu instid0(VALU_DEP_2)
	v_or_b32_e32 v11, v13, v11
	s_cbranch_scc1 .LBB7_613
.LBB7_614:                              ;   in Loop: Header=BB7_608 Depth=1
	s_mov_b32 s15, 0
	s_cbranch_execz .LBB7_621
	s_branch .LBB7_622
.LBB7_615:                              ;   in Loop: Header=BB7_608 Depth=1
	s_waitcnt vmcnt(0)
	v_mov_b32_e32 v8, 0
	v_mov_b32_e32 v9, 0
	s_cmp_eq_u64 s[6:7], 0
	s_mov_b64 s[0:1], 0
	s_cbranch_scc1 .LBB7_618
; %bb.616:                              ;   in Loop: Header=BB7_608 Depth=1
	v_mov_b32_e32 v8, 0
	v_mov_b32_e32 v9, 0
	s_lshl_b64 s[10:11], s[8:9], 3
	s_mov_b64 s[12:13], s[4:5]
.LBB7_617:                              ;   Parent Loop BB7_608 Depth=1
                                        ; =>  This Inner Loop Header: Depth=2
	global_load_u8 v2, v3, s[12:13]
	s_waitcnt vmcnt(0)
	v_and_b32_e32 v2, 0xffff, v2
	s_delay_alu instid0(VALU_DEP_1)
	v_lshlrev_b64 v[10:11], s0, v[2:3]
	s_add_u32 s0, s0, 8
	s_addc_u32 s1, s1, 0
	s_add_u32 s12, s12, 1
	s_addc_u32 s13, s13, 0
	s_cmp_lg_u32 s10, s0
	v_or_b32_e32 v8, v10, v8
	v_or_b32_e32 v9, v11, v9
	s_cbranch_scc1 .LBB7_617
.LBB7_618:                              ;   in Loop: Header=BB7_608 Depth=1
	s_mov_b32 s14, 0
	s_mov_b64 s[0:1], s[4:5]
	s_cbranch_execnz .LBB7_610
.LBB7_619:                              ;   in Loop: Header=BB7_608 Depth=1
	global_load_b64 v[8:9], v3, s[4:5]
	s_add_i32 s14, s8, -8
	s_add_u32 s0, s4, 8
	s_addc_u32 s1, s5, 0
	s_cmp_gt_u32 s14, 7
	s_cbranch_scc0 .LBB7_611
.LBB7_620:                              ;   in Loop: Header=BB7_608 Depth=1
                                        ; implicit-def: $vgpr10_vgpr11
                                        ; implicit-def: $sgpr15
.LBB7_621:                              ;   in Loop: Header=BB7_608 Depth=1
	global_load_b64 v[10:11], v3, s[0:1]
	s_add_i32 s15, s14, -8
	s_add_u32 s0, s0, 8
	s_addc_u32 s1, s1, 0
.LBB7_622:                              ;   in Loop: Header=BB7_608 Depth=1
	s_cmp_gt_u32 s15, 7
	s_cbranch_scc1 .LBB7_627
; %bb.623:                              ;   in Loop: Header=BB7_608 Depth=1
	v_mov_b32_e32 v12, 0
	v_mov_b32_e32 v13, 0
	s_cmp_eq_u32 s15, 0
	s_cbranch_scc1 .LBB7_626
; %bb.624:                              ;   in Loop: Header=BB7_608 Depth=1
	s_mov_b64 s[10:11], 0
	s_mov_b64 s[12:13], 0
.LBB7_625:                              ;   Parent Loop BB7_608 Depth=1
                                        ; =>  This Inner Loop Header: Depth=2
	s_delay_alu instid0(SALU_CYCLE_1)
	s_add_u32 s28, s0, s12
	s_addc_u32 s29, s1, s13
	s_add_u32 s12, s12, 1
	global_load_u8 v2, v3, s[28:29]
	s_addc_u32 s13, s13, 0
	s_waitcnt vmcnt(0)
	v_and_b32_e32 v2, 0xffff, v2
	s_delay_alu instid0(VALU_DEP_1) | instskip(SKIP_3) | instid1(VALU_DEP_1)
	v_lshlrev_b64 v[14:15], s10, v[2:3]
	s_add_u32 s10, s10, 8
	s_addc_u32 s11, s11, 0
	s_cmp_lg_u32 s15, s12
	v_or_b32_e32 v12, v14, v12
	s_delay_alu instid0(VALU_DEP_2)
	v_or_b32_e32 v13, v15, v13
	s_cbranch_scc1 .LBB7_625
.LBB7_626:                              ;   in Loop: Header=BB7_608 Depth=1
	s_mov_b32 s14, 0
	s_cbranch_execz .LBB7_628
	s_branch .LBB7_629
.LBB7_627:                              ;   in Loop: Header=BB7_608 Depth=1
                                        ; implicit-def: $sgpr14
.LBB7_628:                              ;   in Loop: Header=BB7_608 Depth=1
	global_load_b64 v[12:13], v3, s[0:1]
	s_add_i32 s14, s15, -8
	s_add_u32 s0, s0, 8
	s_addc_u32 s1, s1, 0
.LBB7_629:                              ;   in Loop: Header=BB7_608 Depth=1
	s_cmp_gt_u32 s14, 7
	s_cbranch_scc1 .LBB7_634
; %bb.630:                              ;   in Loop: Header=BB7_608 Depth=1
	v_mov_b32_e32 v14, 0
	v_mov_b32_e32 v15, 0
	s_cmp_eq_u32 s14, 0
	s_cbranch_scc1 .LBB7_633
; %bb.631:                              ;   in Loop: Header=BB7_608 Depth=1
	s_mov_b64 s[10:11], 0
	s_mov_b64 s[12:13], 0
.LBB7_632:                              ;   Parent Loop BB7_608 Depth=1
                                        ; =>  This Inner Loop Header: Depth=2
	s_delay_alu instid0(SALU_CYCLE_1)
	s_add_u32 s28, s0, s12
	s_addc_u32 s29, s1, s13
	s_add_u32 s12, s12, 1
	global_load_u8 v2, v3, s[28:29]
	s_addc_u32 s13, s13, 0
	s_waitcnt vmcnt(0)
	v_and_b32_e32 v2, 0xffff, v2
	s_delay_alu instid0(VALU_DEP_1) | instskip(SKIP_3) | instid1(VALU_DEP_1)
	v_lshlrev_b64 v[16:17], s10, v[2:3]
	s_add_u32 s10, s10, 8
	s_addc_u32 s11, s11, 0
	s_cmp_lg_u32 s14, s12
	v_or_b32_e32 v14, v16, v14
	s_delay_alu instid0(VALU_DEP_2)
	v_or_b32_e32 v15, v17, v15
	s_cbranch_scc1 .LBB7_632
.LBB7_633:                              ;   in Loop: Header=BB7_608 Depth=1
	s_mov_b32 s15, 0
	s_cbranch_execz .LBB7_635
	s_branch .LBB7_636
.LBB7_634:                              ;   in Loop: Header=BB7_608 Depth=1
                                        ; implicit-def: $vgpr14_vgpr15
                                        ; implicit-def: $sgpr15
.LBB7_635:                              ;   in Loop: Header=BB7_608 Depth=1
	global_load_b64 v[14:15], v3, s[0:1]
	s_add_i32 s15, s14, -8
	s_add_u32 s0, s0, 8
	s_addc_u32 s1, s1, 0
.LBB7_636:                              ;   in Loop: Header=BB7_608 Depth=1
	s_cmp_gt_u32 s15, 7
	s_cbranch_scc1 .LBB7_641
; %bb.637:                              ;   in Loop: Header=BB7_608 Depth=1
	v_mov_b32_e32 v16, 0
	v_mov_b32_e32 v17, 0
	s_cmp_eq_u32 s15, 0
	s_cbranch_scc1 .LBB7_640
; %bb.638:                              ;   in Loop: Header=BB7_608 Depth=1
	s_mov_b64 s[10:11], 0
	s_mov_b64 s[12:13], 0
.LBB7_639:                              ;   Parent Loop BB7_608 Depth=1
                                        ; =>  This Inner Loop Header: Depth=2
	s_delay_alu instid0(SALU_CYCLE_1)
	s_add_u32 s28, s0, s12
	s_addc_u32 s29, s1, s13
	s_add_u32 s12, s12, 1
	global_load_u8 v2, v3, s[28:29]
	s_addc_u32 s13, s13, 0
	s_waitcnt vmcnt(0)
	v_and_b32_e32 v2, 0xffff, v2
	s_delay_alu instid0(VALU_DEP_1) | instskip(SKIP_3) | instid1(VALU_DEP_1)
	v_lshlrev_b64 v[18:19], s10, v[2:3]
	s_add_u32 s10, s10, 8
	s_addc_u32 s11, s11, 0
	s_cmp_lg_u32 s15, s12
	v_or_b32_e32 v16, v18, v16
	s_delay_alu instid0(VALU_DEP_2)
	v_or_b32_e32 v17, v19, v17
	s_cbranch_scc1 .LBB7_639
.LBB7_640:                              ;   in Loop: Header=BB7_608 Depth=1
	s_mov_b32 s14, 0
	s_cbranch_execz .LBB7_642
	s_branch .LBB7_643
.LBB7_641:                              ;   in Loop: Header=BB7_608 Depth=1
                                        ; implicit-def: $sgpr14
.LBB7_642:                              ;   in Loop: Header=BB7_608 Depth=1
	global_load_b64 v[16:17], v3, s[0:1]
	s_add_i32 s14, s15, -8
	s_add_u32 s0, s0, 8
	s_addc_u32 s1, s1, 0
.LBB7_643:                              ;   in Loop: Header=BB7_608 Depth=1
	s_cmp_gt_u32 s14, 7
	s_cbranch_scc1 .LBB7_648
; %bb.644:                              ;   in Loop: Header=BB7_608 Depth=1
	v_mov_b32_e32 v18, 0
	v_mov_b32_e32 v19, 0
	s_cmp_eq_u32 s14, 0
	s_cbranch_scc1 .LBB7_647
; %bb.645:                              ;   in Loop: Header=BB7_608 Depth=1
	s_mov_b64 s[10:11], 0
	s_mov_b64 s[12:13], 0
.LBB7_646:                              ;   Parent Loop BB7_608 Depth=1
                                        ; =>  This Inner Loop Header: Depth=2
	s_delay_alu instid0(SALU_CYCLE_1)
	s_add_u32 s28, s0, s12
	s_addc_u32 s29, s1, s13
	s_add_u32 s12, s12, 1
	global_load_u8 v2, v3, s[28:29]
	s_addc_u32 s13, s13, 0
	s_waitcnt vmcnt(0)
	v_and_b32_e32 v2, 0xffff, v2
	s_delay_alu instid0(VALU_DEP_1) | instskip(SKIP_3) | instid1(VALU_DEP_1)
	v_lshlrev_b64 v[20:21], s10, v[2:3]
	s_add_u32 s10, s10, 8
	s_addc_u32 s11, s11, 0
	s_cmp_lg_u32 s14, s12
	v_or_b32_e32 v18, v20, v18
	s_delay_alu instid0(VALU_DEP_2)
	v_or_b32_e32 v19, v21, v19
	s_cbranch_scc1 .LBB7_646
.LBB7_647:                              ;   in Loop: Header=BB7_608 Depth=1
	s_mov_b32 s15, 0
	s_cbranch_execz .LBB7_649
	s_branch .LBB7_650
.LBB7_648:                              ;   in Loop: Header=BB7_608 Depth=1
                                        ; implicit-def: $vgpr18_vgpr19
                                        ; implicit-def: $sgpr15
.LBB7_649:                              ;   in Loop: Header=BB7_608 Depth=1
	global_load_b64 v[18:19], v3, s[0:1]
	s_add_i32 s15, s14, -8
	s_add_u32 s0, s0, 8
	s_addc_u32 s1, s1, 0
.LBB7_650:                              ;   in Loop: Header=BB7_608 Depth=1
	s_cmp_gt_u32 s15, 7
	s_cbranch_scc1 .LBB7_655
; %bb.651:                              ;   in Loop: Header=BB7_608 Depth=1
	v_mov_b32_e32 v20, 0
	v_mov_b32_e32 v21, 0
	s_cmp_eq_u32 s15, 0
	s_cbranch_scc1 .LBB7_654
; %bb.652:                              ;   in Loop: Header=BB7_608 Depth=1
	s_mov_b64 s[10:11], 0
	s_mov_b64 s[12:13], s[0:1]
.LBB7_653:                              ;   Parent Loop BB7_608 Depth=1
                                        ; =>  This Inner Loop Header: Depth=2
	global_load_u8 v2, v3, s[12:13]
	s_add_i32 s15, s15, -1
	s_waitcnt vmcnt(0)
	v_and_b32_e32 v2, 0xffff, v2
	s_delay_alu instid0(VALU_DEP_1)
	v_lshlrev_b64 v[22:23], s10, v[2:3]
	s_add_u32 s10, s10, 8
	s_addc_u32 s11, s11, 0
	s_add_u32 s12, s12, 1
	s_addc_u32 s13, s13, 0
	s_cmp_lg_u32 s15, 0
	v_or_b32_e32 v20, v22, v20
	v_or_b32_e32 v21, v23, v21
	s_cbranch_scc1 .LBB7_653
.LBB7_654:                              ;   in Loop: Header=BB7_608 Depth=1
	s_cbranch_execz .LBB7_656
	s_branch .LBB7_657
.LBB7_655:                              ;   in Loop: Header=BB7_608 Depth=1
.LBB7_656:                              ;   in Loop: Header=BB7_608 Depth=1
	global_load_b64 v[20:21], v3, s[0:1]
.LBB7_657:                              ;   in Loop: Header=BB7_608 Depth=1
	v_readfirstlane_b32 s0, v29
	v_mov_b32_e32 v26, 0
	v_mov_b32_e32 v27, 0
	s_delay_alu instid0(VALU_DEP_3) | instskip(NEXT) | instid1(VALU_DEP_1)
	v_cmp_eq_u32_e64 s0, s0, v29
	s_and_saveexec_b32 s1, s0
	s_cbranch_execz .LBB7_663
; %bb.658:                              ;   in Loop: Header=BB7_608 Depth=1
	global_load_b64 v[24:25], v3, s[2:3] offset:24 glc
	s_waitcnt vmcnt(0)
	buffer_gl1_inv
	buffer_gl0_inv
	s_clause 0x1
	global_load_b64 v[22:23], v3, s[2:3] offset:40
	global_load_b64 v[26:27], v3, s[2:3]
	s_mov_b32 s10, exec_lo
	s_waitcnt vmcnt(1)
	v_and_b32_e32 v2, v23, v25
	v_and_b32_e32 v22, v22, v24
	s_delay_alu instid0(VALU_DEP_2) | instskip(NEXT) | instid1(VALU_DEP_2)
	v_mul_lo_u32 v2, v2, 24
	v_mul_hi_u32 v23, v22, 24
	v_mul_lo_u32 v22, v22, 24
	s_delay_alu instid0(VALU_DEP_2) | instskip(SKIP_1) | instid1(VALU_DEP_2)
	v_add_nc_u32_e32 v2, v23, v2
	s_waitcnt vmcnt(0)
	v_add_co_u32 v22, vcc_lo, v26, v22
	s_delay_alu instid0(VALU_DEP_2)
	v_add_co_ci_u32_e32 v23, vcc_lo, v27, v2, vcc_lo
	global_load_b64 v[22:23], v[22:23], off glc
	s_waitcnt vmcnt(0)
	global_atomic_cmpswap_b64 v[26:27], v3, v[22:25], s[2:3] offset:24 glc
	s_waitcnt vmcnt(0)
	buffer_gl1_inv
	buffer_gl0_inv
	v_cmpx_ne_u64_e64 v[26:27], v[24:25]
	s_cbranch_execz .LBB7_662
; %bb.659:                              ;   in Loop: Header=BB7_608 Depth=1
	s_mov_b32 s11, 0
	.p2align	6
.LBB7_660:                              ;   Parent Loop BB7_608 Depth=1
                                        ; =>  This Inner Loop Header: Depth=2
	s_sleep 1
	s_clause 0x1
	global_load_b64 v[22:23], v3, s[2:3] offset:40
	global_load_b64 v[30:31], v3, s[2:3]
	v_dual_mov_b32 v24, v26 :: v_dual_mov_b32 v25, v27
	s_waitcnt vmcnt(1)
	s_delay_alu instid0(VALU_DEP_1) | instskip(SKIP_1) | instid1(VALU_DEP_1)
	v_and_b32_e32 v2, v22, v24
	s_waitcnt vmcnt(0)
	v_mad_u64_u32 v[26:27], null, v2, 24, v[30:31]
	v_and_b32_e32 v30, v23, v25
	s_delay_alu instid0(VALU_DEP_2) | instskip(NEXT) | instid1(VALU_DEP_1)
	v_mov_b32_e32 v2, v27
	v_mad_u64_u32 v[22:23], null, v30, 24, v[2:3]
	s_delay_alu instid0(VALU_DEP_1)
	v_mov_b32_e32 v27, v22
	global_load_b64 v[22:23], v[26:27], off glc
	s_waitcnt vmcnt(0)
	global_atomic_cmpswap_b64 v[26:27], v3, v[22:25], s[2:3] offset:24 glc
	s_waitcnt vmcnt(0)
	buffer_gl1_inv
	buffer_gl0_inv
	v_cmp_eq_u64_e32 vcc_lo, v[26:27], v[24:25]
	s_or_b32 s11, vcc_lo, s11
	s_delay_alu instid0(SALU_CYCLE_1)
	s_and_not1_b32 exec_lo, exec_lo, s11
	s_cbranch_execnz .LBB7_660
; %bb.661:                              ;   in Loop: Header=BB7_608 Depth=1
	s_or_b32 exec_lo, exec_lo, s11
.LBB7_662:                              ;   in Loop: Header=BB7_608 Depth=1
	s_delay_alu instid0(SALU_CYCLE_1)
	s_or_b32 exec_lo, exec_lo, s10
.LBB7_663:                              ;   in Loop: Header=BB7_608 Depth=1
	s_delay_alu instid0(SALU_CYCLE_1)
	s_or_b32 exec_lo, exec_lo, s1
	s_clause 0x1
	global_load_b64 v[30:31], v3, s[2:3] offset:40
	global_load_b128 v[22:25], v3, s[2:3]
	v_readfirstlane_b32 s10, v26
	v_readfirstlane_b32 s11, v27
	s_mov_b32 s1, exec_lo
	s_waitcnt vmcnt(1)
	v_readfirstlane_b32 s12, v30
	v_readfirstlane_b32 s13, v31
	s_delay_alu instid0(VALU_DEP_1) | instskip(NEXT) | instid1(SALU_CYCLE_1)
	s_and_b64 s[12:13], s[10:11], s[12:13]
	s_mul_i32 s14, s13, 24
	s_mul_hi_u32 s15, s12, 24
	s_mul_i32 s16, s12, 24
	s_add_i32 s15, s15, s14
	s_waitcnt vmcnt(0)
	v_add_co_u32 v26, vcc_lo, v22, s16
	v_add_co_ci_u32_e32 v27, vcc_lo, s15, v23, vcc_lo
	s_and_saveexec_b32 s14, s0
	s_cbranch_execz .LBB7_665
; %bb.664:                              ;   in Loop: Header=BB7_608 Depth=1
	v_mov_b32_e32 v2, s1
	global_store_b128 v[26:27], v[2:5], off offset:8
.LBB7_665:                              ;   in Loop: Header=BB7_608 Depth=1
	s_or_b32 exec_lo, exec_lo, s14
	s_lshl_b64 s[12:13], s[12:13], 12
	v_or_b32_e32 v2, 2, v6
	v_add_co_u32 v24, vcc_lo, v24, s12
	v_add_co_ci_u32_e32 v25, vcc_lo, s13, v25, vcc_lo
	v_cmp_gt_u64_e64 vcc_lo, s[6:7], 56
	s_lshl_b32 s1, s8, 2
	s_delay_alu instid0(VALU_DEP_3) | instskip(SKIP_4) | instid1(VALU_DEP_1)
	v_readfirstlane_b32 s12, v24
	s_add_i32 s1, s1, 28
	v_readfirstlane_b32 s13, v25
	s_and_b32 s1, s1, 0x1e0
	v_cndmask_b32_e32 v2, v2, v6, vcc_lo
	v_and_or_b32 v6, 0xffffff1f, v2, s1
	s_clause 0x3
	global_store_b128 v28, v[6:9], s[12:13]
	global_store_b128 v28, v[10:13], s[12:13] offset:16
	global_store_b128 v28, v[14:17], s[12:13] offset:32
	;; [unrolled: 1-line block ×3, first 2 shown]
	s_and_saveexec_b32 s1, s0
	s_cbranch_execz .LBB7_673
; %bb.666:                              ;   in Loop: Header=BB7_608 Depth=1
	s_clause 0x1
	global_load_b64 v[14:15], v3, s[2:3] offset:32 glc
	global_load_b64 v[6:7], v3, s[2:3] offset:40
	v_dual_mov_b32 v12, s10 :: v_dual_mov_b32 v13, s11
	s_waitcnt vmcnt(0)
	v_readfirstlane_b32 s12, v6
	v_readfirstlane_b32 s13, v7
	s_delay_alu instid0(VALU_DEP_1) | instskip(NEXT) | instid1(SALU_CYCLE_1)
	s_and_b64 s[12:13], s[12:13], s[10:11]
	s_mul_i32 s13, s13, 24
	s_mul_hi_u32 s14, s12, 24
	s_mul_i32 s12, s12, 24
	s_add_i32 s14, s14, s13
	v_add_co_u32 v10, vcc_lo, v22, s12
	v_add_co_ci_u32_e32 v11, vcc_lo, s14, v23, vcc_lo
	s_mov_b32 s12, exec_lo
	global_store_b64 v[10:11], v[14:15], off
	s_waitcnt_vscnt null, 0x0
	global_atomic_cmpswap_b64 v[8:9], v3, v[12:15], s[2:3] offset:32 glc
	s_waitcnt vmcnt(0)
	v_cmpx_ne_u64_e64 v[8:9], v[14:15]
	s_cbranch_execz .LBB7_669
; %bb.667:                              ;   in Loop: Header=BB7_608 Depth=1
	s_mov_b32 s13, 0
.LBB7_668:                              ;   Parent Loop BB7_608 Depth=1
                                        ; =>  This Inner Loop Header: Depth=2
	v_dual_mov_b32 v6, s10 :: v_dual_mov_b32 v7, s11
	s_sleep 1
	global_store_b64 v[10:11], v[8:9], off
	s_waitcnt_vscnt null, 0x0
	global_atomic_cmpswap_b64 v[6:7], v3, v[6:9], s[2:3] offset:32 glc
	s_waitcnt vmcnt(0)
	v_cmp_eq_u64_e32 vcc_lo, v[6:7], v[8:9]
	v_dual_mov_b32 v9, v7 :: v_dual_mov_b32 v8, v6
	s_or_b32 s13, vcc_lo, s13
	s_delay_alu instid0(SALU_CYCLE_1)
	s_and_not1_b32 exec_lo, exec_lo, s13
	s_cbranch_execnz .LBB7_668
.LBB7_669:                              ;   in Loop: Header=BB7_608 Depth=1
	s_or_b32 exec_lo, exec_lo, s12
	global_load_b64 v[6:7], v3, s[2:3] offset:16
	s_mov_b32 s13, exec_lo
	s_mov_b32 s12, exec_lo
	v_mbcnt_lo_u32_b32 v2, s13, 0
	s_delay_alu instid0(VALU_DEP_1)
	v_cmpx_eq_u32_e32 0, v2
	s_cbranch_execz .LBB7_671
; %bb.670:                              ;   in Loop: Header=BB7_608 Depth=1
	s_bcnt1_i32_b32 s13, s13
	s_delay_alu instid0(SALU_CYCLE_1)
	v_mov_b32_e32 v2, s13
	s_waitcnt vmcnt(0)
	global_atomic_add_u64 v[6:7], v[2:3], off offset:8
.LBB7_671:                              ;   in Loop: Header=BB7_608 Depth=1
	s_or_b32 exec_lo, exec_lo, s12
	s_waitcnt vmcnt(0)
	global_load_b64 v[8:9], v[6:7], off offset:16
	s_waitcnt vmcnt(0)
	v_cmp_eq_u64_e32 vcc_lo, 0, v[8:9]
	s_cbranch_vccnz .LBB7_673
; %bb.672:                              ;   in Loop: Header=BB7_608 Depth=1
	global_load_b32 v2, v[6:7], off offset:24
	s_waitcnt vmcnt(0)
	v_and_b32_e32 v6, 0xffffff, v2
	s_waitcnt_vscnt null, 0x0
	global_store_b64 v[8:9], v[2:3], off
	v_readfirstlane_b32 m0, v6
	s_sendmsg sendmsg(MSG_INTERRUPT)
.LBB7_673:                              ;   in Loop: Header=BB7_608 Depth=1
	s_or_b32 exec_lo, exec_lo, s1
	v_add_co_u32 v6, vcc_lo, v24, v28
	v_add_co_ci_u32_e32 v7, vcc_lo, 0, v25, vcc_lo
	s_branch .LBB7_677
	.p2align	6
.LBB7_674:                              ;   in Loop: Header=BB7_677 Depth=2
	s_or_b32 exec_lo, exec_lo, s1
	s_delay_alu instid0(VALU_DEP_1) | instskip(NEXT) | instid1(VALU_DEP_1)
	v_readfirstlane_b32 s1, v2
	s_cmp_eq_u32 s1, 0
	s_cbranch_scc1 .LBB7_676
; %bb.675:                              ;   in Loop: Header=BB7_677 Depth=2
	s_sleep 1
	s_cbranch_execnz .LBB7_677
	s_branch .LBB7_679
	.p2align	6
.LBB7_676:                              ;   in Loop: Header=BB7_608 Depth=1
	s_branch .LBB7_679
.LBB7_677:                              ;   Parent Loop BB7_608 Depth=1
                                        ; =>  This Inner Loop Header: Depth=2
	v_mov_b32_e32 v2, 1
	s_and_saveexec_b32 s1, s0
	s_cbranch_execz .LBB7_674
; %bb.678:                              ;   in Loop: Header=BB7_677 Depth=2
	global_load_b32 v2, v[26:27], off offset:20 glc
	s_waitcnt vmcnt(0)
	buffer_gl1_inv
	buffer_gl0_inv
	v_and_b32_e32 v2, 1, v2
	s_branch .LBB7_674
.LBB7_679:                              ;   in Loop: Header=BB7_608 Depth=1
	global_load_b128 v[6:9], v[6:7], off
	s_and_saveexec_b32 s1, s0
	s_cbranch_execz .LBB7_607
; %bb.680:                              ;   in Loop: Header=BB7_608 Depth=1
	s_clause 0x2
	global_load_b64 v[10:11], v3, s[2:3] offset:40
	global_load_b64 v[14:15], v3, s[2:3] offset:24 glc
	global_load_b64 v[12:13], v3, s[2:3]
	s_waitcnt vmcnt(2)
	v_add_co_u32 v2, vcc_lo, v10, 1
	v_add_co_ci_u32_e32 v16, vcc_lo, 0, v11, vcc_lo
	s_delay_alu instid0(VALU_DEP_2) | instskip(NEXT) | instid1(VALU_DEP_2)
	v_add_co_u32 v8, vcc_lo, v2, s10
	v_add_co_ci_u32_e32 v9, vcc_lo, s11, v16, vcc_lo
	s_delay_alu instid0(VALU_DEP_1) | instskip(SKIP_1) | instid1(VALU_DEP_1)
	v_cmp_eq_u64_e32 vcc_lo, 0, v[8:9]
	v_dual_cndmask_b32 v9, v9, v16 :: v_dual_cndmask_b32 v8, v8, v2
	v_and_b32_e32 v2, v9, v11
	s_delay_alu instid0(VALU_DEP_2) | instskip(NEXT) | instid1(VALU_DEP_2)
	v_and_b32_e32 v10, v8, v10
	v_mul_lo_u32 v2, v2, 24
	s_delay_alu instid0(VALU_DEP_2) | instskip(SKIP_1) | instid1(VALU_DEP_2)
	v_mul_hi_u32 v11, v10, 24
	v_mul_lo_u32 v10, v10, 24
	v_add_nc_u32_e32 v2, v11, v2
	s_waitcnt vmcnt(1)
	v_mov_b32_e32 v11, v15
	s_waitcnt vmcnt(0)
	s_delay_alu instid0(VALU_DEP_3)
	v_add_co_u32 v12, vcc_lo, v12, v10
	v_mov_b32_e32 v10, v14
	v_add_co_ci_u32_e32 v13, vcc_lo, v13, v2, vcc_lo
	global_store_b64 v[12:13], v[14:15], off
	s_waitcnt_vscnt null, 0x0
	global_atomic_cmpswap_b64 v[10:11], v3, v[8:11], s[2:3] offset:24 glc
	s_waitcnt vmcnt(0)
	v_cmp_ne_u64_e32 vcc_lo, v[10:11], v[14:15]
	s_and_b32 exec_lo, exec_lo, vcc_lo
	s_cbranch_execz .LBB7_607
; %bb.681:                              ;   in Loop: Header=BB7_608 Depth=1
	s_mov_b32 s0, 0
.LBB7_682:                              ;   Parent Loop BB7_608 Depth=1
                                        ; =>  This Inner Loop Header: Depth=2
	s_sleep 1
	global_store_b64 v[12:13], v[10:11], off
	s_waitcnt_vscnt null, 0x0
	global_atomic_cmpswap_b64 v[14:15], v3, v[8:11], s[2:3] offset:24 glc
	s_waitcnt vmcnt(0)
	v_cmp_eq_u64_e32 vcc_lo, v[14:15], v[10:11]
	v_dual_mov_b32 v10, v14 :: v_dual_mov_b32 v11, v15
	s_or_b32 s0, vcc_lo, s0
	s_delay_alu instid0(SALU_CYCLE_1)
	s_and_not1_b32 exec_lo, exec_lo, s0
	s_cbranch_execnz .LBB7_682
	s_branch .LBB7_607
.LBB7_683:
	s_branch .LBB7_714
.LBB7_684:
	s_branch .LBB7_745
.LBB7_685:
	s_branch .LBB7_775
.LBB7_686:
	s_cbranch_execz .LBB7_714
; %bb.687:
	v_readfirstlane_b32 s0, v29
	s_waitcnt vmcnt(0)
	v_mov_b32_e32 v8, 0
	v_mov_b32_e32 v9, 0
	s_delay_alu instid0(VALU_DEP_3) | instskip(NEXT) | instid1(VALU_DEP_1)
	v_cmp_eq_u32_e64 s0, s0, v29
	s_and_saveexec_b32 s1, s0
	s_cbranch_execz .LBB7_693
; %bb.688:
	v_mov_b32_e32 v2, 0
	s_mov_b32 s4, exec_lo
	global_load_b64 v[5:6], v2, s[2:3] offset:24 glc
	s_waitcnt vmcnt(0)
	buffer_gl1_inv
	buffer_gl0_inv
	s_clause 0x1
	global_load_b64 v[3:4], v2, s[2:3] offset:40
	global_load_b64 v[7:8], v2, s[2:3]
	s_waitcnt vmcnt(1)
	v_and_b32_e32 v3, v3, v5
	v_and_b32_e32 v4, v4, v6
	s_delay_alu instid0(VALU_DEP_2) | instskip(NEXT) | instid1(VALU_DEP_2)
	v_mul_hi_u32 v9, v3, 24
	v_mul_lo_u32 v4, v4, 24
	v_mul_lo_u32 v3, v3, 24
	s_delay_alu instid0(VALU_DEP_2) | instskip(SKIP_1) | instid1(VALU_DEP_2)
	v_add_nc_u32_e32 v4, v9, v4
	s_waitcnt vmcnt(0)
	v_add_co_u32 v3, vcc_lo, v7, v3
	s_delay_alu instid0(VALU_DEP_2)
	v_add_co_ci_u32_e32 v4, vcc_lo, v8, v4, vcc_lo
	global_load_b64 v[3:4], v[3:4], off glc
	s_waitcnt vmcnt(0)
	global_atomic_cmpswap_b64 v[8:9], v2, v[3:6], s[2:3] offset:24 glc
	s_waitcnt vmcnt(0)
	buffer_gl1_inv
	buffer_gl0_inv
	v_cmpx_ne_u64_e64 v[8:9], v[5:6]
	s_cbranch_execz .LBB7_692
; %bb.689:
	s_mov_b32 s5, 0
	.p2align	6
.LBB7_690:                              ; =>This Inner Loop Header: Depth=1
	s_sleep 1
	s_clause 0x1
	global_load_b64 v[3:4], v2, s[2:3] offset:40
	global_load_b64 v[10:11], v2, s[2:3]
	v_dual_mov_b32 v5, v8 :: v_dual_mov_b32 v6, v9
	s_waitcnt vmcnt(1)
	s_delay_alu instid0(VALU_DEP_1) | instskip(NEXT) | instid1(VALU_DEP_2)
	v_and_b32_e32 v3, v3, v5
	v_and_b32_e32 v4, v4, v6
	s_waitcnt vmcnt(0)
	s_delay_alu instid0(VALU_DEP_2) | instskip(NEXT) | instid1(VALU_DEP_1)
	v_mad_u64_u32 v[7:8], null, v3, 24, v[10:11]
	v_mov_b32_e32 v3, v8
	s_delay_alu instid0(VALU_DEP_1)
	v_mad_u64_u32 v[8:9], null, v4, 24, v[3:4]
	global_load_b64 v[3:4], v[7:8], off glc
	s_waitcnt vmcnt(0)
	global_atomic_cmpswap_b64 v[8:9], v2, v[3:6], s[2:3] offset:24 glc
	s_waitcnt vmcnt(0)
	buffer_gl1_inv
	buffer_gl0_inv
	v_cmp_eq_u64_e32 vcc_lo, v[8:9], v[5:6]
	s_or_b32 s5, vcc_lo, s5
	s_delay_alu instid0(SALU_CYCLE_1)
	s_and_not1_b32 exec_lo, exec_lo, s5
	s_cbranch_execnz .LBB7_690
; %bb.691:
	s_or_b32 exec_lo, exec_lo, s5
.LBB7_692:
	s_delay_alu instid0(SALU_CYCLE_1)
	s_or_b32 exec_lo, exec_lo, s4
.LBB7_693:
	s_delay_alu instid0(SALU_CYCLE_1)
	s_or_b32 exec_lo, exec_lo, s1
	v_mov_b32_e32 v2, 0
	v_readfirstlane_b32 s4, v8
	v_readfirstlane_b32 s5, v9
	s_mov_b32 s1, exec_lo
	s_clause 0x1
	global_load_b64 v[10:11], v2, s[2:3] offset:40
	global_load_b128 v[4:7], v2, s[2:3]
	s_waitcnt vmcnt(1)
	v_readfirstlane_b32 s6, v10
	v_readfirstlane_b32 s7, v11
	s_delay_alu instid0(VALU_DEP_1) | instskip(NEXT) | instid1(SALU_CYCLE_1)
	s_and_b64 s[6:7], s[4:5], s[6:7]
	s_mul_i32 s8, s7, 24
	s_mul_hi_u32 s9, s6, 24
	s_mul_i32 s10, s6, 24
	s_add_i32 s9, s9, s8
	s_waitcnt vmcnt(0)
	v_add_co_u32 v8, vcc_lo, v4, s10
	v_add_co_ci_u32_e32 v9, vcc_lo, s9, v5, vcc_lo
	s_and_saveexec_b32 s8, s0
	s_cbranch_execz .LBB7_695
; %bb.694:
	v_dual_mov_b32 v10, s1 :: v_dual_mov_b32 v11, v2
	v_dual_mov_b32 v12, 2 :: v_dual_mov_b32 v13, 1
	global_store_b128 v[8:9], v[10:13], off offset:8
.LBB7_695:
	s_or_b32 exec_lo, exec_lo, s8
	s_lshl_b64 s[6:7], s[6:7], 12
	s_mov_b32 s8, 0
	v_add_co_u32 v6, vcc_lo, v6, s6
	v_add_co_ci_u32_e32 v7, vcc_lo, s7, v7, vcc_lo
	s_mov_b32 s11, s8
	s_mov_b32 s9, s8
	;; [unrolled: 1-line block ×3, first 2 shown]
	v_and_or_b32 v0, 0xffffff1d, v0, 34
	v_mov_b32_e32 v3, v2
	v_readfirstlane_b32 s6, v6
	v_readfirstlane_b32 s7, v7
	v_dual_mov_b32 v13, s11 :: v_dual_mov_b32 v10, s8
	v_dual_mov_b32 v12, s10 :: v_dual_mov_b32 v11, s9
	s_clause 0x3
	global_store_b128 v28, v[0:3], s[6:7]
	global_store_b128 v28, v[10:13], s[6:7] offset:16
	global_store_b128 v28, v[10:13], s[6:7] offset:32
	;; [unrolled: 1-line block ×3, first 2 shown]
	s_and_saveexec_b32 s1, s0
	s_cbranch_execz .LBB7_703
; %bb.696:
	v_dual_mov_b32 v6, 0 :: v_dual_mov_b32 v11, s5
	v_mov_b32_e32 v10, s4
	s_clause 0x1
	global_load_b64 v[12:13], v6, s[2:3] offset:32 glc
	global_load_b64 v[0:1], v6, s[2:3] offset:40
	s_waitcnt vmcnt(0)
	v_readfirstlane_b32 s6, v0
	v_readfirstlane_b32 s7, v1
	s_delay_alu instid0(VALU_DEP_1) | instskip(NEXT) | instid1(SALU_CYCLE_1)
	s_and_b64 s[6:7], s[6:7], s[4:5]
	s_mul_i32 s7, s7, 24
	s_mul_hi_u32 s8, s6, 24
	s_mul_i32 s6, s6, 24
	s_add_i32 s8, s8, s7
	v_add_co_u32 v4, vcc_lo, v4, s6
	v_add_co_ci_u32_e32 v5, vcc_lo, s8, v5, vcc_lo
	s_mov_b32 s6, exec_lo
	global_store_b64 v[4:5], v[12:13], off
	s_waitcnt_vscnt null, 0x0
	global_atomic_cmpswap_b64 v[2:3], v6, v[10:13], s[2:3] offset:32 glc
	s_waitcnt vmcnt(0)
	v_cmpx_ne_u64_e64 v[2:3], v[12:13]
	s_cbranch_execz .LBB7_699
; %bb.697:
	s_mov_b32 s7, 0
.LBB7_698:                              ; =>This Inner Loop Header: Depth=1
	v_dual_mov_b32 v0, s4 :: v_dual_mov_b32 v1, s5
	s_sleep 1
	global_store_b64 v[4:5], v[2:3], off
	s_waitcnt_vscnt null, 0x0
	global_atomic_cmpswap_b64 v[0:1], v6, v[0:3], s[2:3] offset:32 glc
	s_waitcnt vmcnt(0)
	v_cmp_eq_u64_e32 vcc_lo, v[0:1], v[2:3]
	v_dual_mov_b32 v3, v1 :: v_dual_mov_b32 v2, v0
	s_or_b32 s7, vcc_lo, s7
	s_delay_alu instid0(SALU_CYCLE_1)
	s_and_not1_b32 exec_lo, exec_lo, s7
	s_cbranch_execnz .LBB7_698
.LBB7_699:
	s_or_b32 exec_lo, exec_lo, s6
	v_mov_b32_e32 v3, 0
	s_mov_b32 s7, exec_lo
	s_mov_b32 s6, exec_lo
	v_mbcnt_lo_u32_b32 v2, s7, 0
	global_load_b64 v[0:1], v3, s[2:3] offset:16
	v_cmpx_eq_u32_e32 0, v2
	s_cbranch_execz .LBB7_701
; %bb.700:
	s_bcnt1_i32_b32 s7, s7
	s_delay_alu instid0(SALU_CYCLE_1)
	v_mov_b32_e32 v2, s7
	s_waitcnt vmcnt(0)
	global_atomic_add_u64 v[0:1], v[2:3], off offset:8
.LBB7_701:
	s_or_b32 exec_lo, exec_lo, s6
	s_waitcnt vmcnt(0)
	global_load_b64 v[2:3], v[0:1], off offset:16
	s_waitcnt vmcnt(0)
	v_cmp_eq_u64_e32 vcc_lo, 0, v[2:3]
	s_cbranch_vccnz .LBB7_703
; %bb.702:
	global_load_b32 v0, v[0:1], off offset:24
	s_waitcnt vmcnt(0)
	v_dual_mov_b32 v1, 0 :: v_dual_and_b32 v4, 0xffffff, v0
	s_waitcnt_vscnt null, 0x0
	global_store_b64 v[2:3], v[0:1], off
	v_readfirstlane_b32 m0, v4
	s_sendmsg sendmsg(MSG_INTERRUPT)
.LBB7_703:
	s_or_b32 exec_lo, exec_lo, s1
	s_branch .LBB7_707
	.p2align	6
.LBB7_704:                              ;   in Loop: Header=BB7_707 Depth=1
	s_or_b32 exec_lo, exec_lo, s1
	s_delay_alu instid0(VALU_DEP_1) | instskip(NEXT) | instid1(VALU_DEP_1)
	v_readfirstlane_b32 s1, v0
	s_cmp_eq_u32 s1, 0
	s_cbranch_scc1 .LBB7_706
; %bb.705:                              ;   in Loop: Header=BB7_707 Depth=1
	s_sleep 1
	s_cbranch_execnz .LBB7_707
	s_branch .LBB7_709
	.p2align	6
.LBB7_706:
	s_branch .LBB7_709
.LBB7_707:                              ; =>This Inner Loop Header: Depth=1
	v_mov_b32_e32 v0, 1
	s_and_saveexec_b32 s1, s0
	s_cbranch_execz .LBB7_704
; %bb.708:                              ;   in Loop: Header=BB7_707 Depth=1
	global_load_b32 v0, v[8:9], off offset:20 glc
	s_waitcnt vmcnt(0)
	buffer_gl1_inv
	buffer_gl0_inv
	v_and_b32_e32 v0, 1, v0
	s_branch .LBB7_704
.LBB7_709:
	s_and_saveexec_b32 s1, s0
	s_cbranch_execz .LBB7_713
; %bb.710:
	v_mov_b32_e32 v6, 0
	s_clause 0x2
	global_load_b64 v[2:3], v6, s[2:3] offset:40
	global_load_b64 v[7:8], v6, s[2:3] offset:24 glc
	global_load_b64 v[4:5], v6, s[2:3]
	s_waitcnt vmcnt(2)
	v_add_co_u32 v9, vcc_lo, v2, 1
	v_add_co_ci_u32_e32 v10, vcc_lo, 0, v3, vcc_lo
	s_delay_alu instid0(VALU_DEP_2) | instskip(NEXT) | instid1(VALU_DEP_2)
	v_add_co_u32 v0, vcc_lo, v9, s4
	v_add_co_ci_u32_e32 v1, vcc_lo, s5, v10, vcc_lo
	s_delay_alu instid0(VALU_DEP_1) | instskip(SKIP_1) | instid1(VALU_DEP_1)
	v_cmp_eq_u64_e32 vcc_lo, 0, v[0:1]
	v_dual_cndmask_b32 v1, v1, v10 :: v_dual_cndmask_b32 v0, v0, v9
	v_and_b32_e32 v3, v1, v3
	s_delay_alu instid0(VALU_DEP_2) | instskip(NEXT) | instid1(VALU_DEP_2)
	v_and_b32_e32 v2, v0, v2
	v_mul_lo_u32 v3, v3, 24
	s_delay_alu instid0(VALU_DEP_2) | instskip(SKIP_1) | instid1(VALU_DEP_2)
	v_mul_hi_u32 v9, v2, 24
	v_mul_lo_u32 v2, v2, 24
	v_add_nc_u32_e32 v3, v9, v3
	s_waitcnt vmcnt(0)
	s_delay_alu instid0(VALU_DEP_2) | instskip(SKIP_1) | instid1(VALU_DEP_3)
	v_add_co_u32 v4, vcc_lo, v4, v2
	v_mov_b32_e32 v2, v7
	v_add_co_ci_u32_e32 v5, vcc_lo, v5, v3, vcc_lo
	v_mov_b32_e32 v3, v8
	global_store_b64 v[4:5], v[7:8], off
	s_waitcnt_vscnt null, 0x0
	global_atomic_cmpswap_b64 v[2:3], v6, v[0:3], s[2:3] offset:24 glc
	s_waitcnt vmcnt(0)
	v_cmp_ne_u64_e32 vcc_lo, v[2:3], v[7:8]
	s_and_b32 exec_lo, exec_lo, vcc_lo
	s_cbranch_execz .LBB7_713
; %bb.711:
	s_mov_b32 s0, 0
.LBB7_712:                              ; =>This Inner Loop Header: Depth=1
	s_sleep 1
	global_store_b64 v[4:5], v[2:3], off
	s_waitcnt_vscnt null, 0x0
	global_atomic_cmpswap_b64 v[7:8], v6, v[0:3], s[2:3] offset:24 glc
	s_waitcnt vmcnt(0)
	v_cmp_eq_u64_e32 vcc_lo, v[7:8], v[2:3]
	v_dual_mov_b32 v2, v7 :: v_dual_mov_b32 v3, v8
	s_or_b32 s0, vcc_lo, s0
	s_delay_alu instid0(SALU_CYCLE_1)
	s_and_not1_b32 exec_lo, exec_lo, s0
	s_cbranch_execnz .LBB7_712
.LBB7_713:
	s_or_b32 exec_lo, exec_lo, s1
.LBB7_714:
	v_readlane_b32 s0, v123, 0
	v_readlane_b32 s1, v123, 1
	s_delay_alu instid0(VALU_DEP_2) | instskip(NEXT) | instid1(VALU_DEP_1)
	s_add_u32 s8, s0, 0x80
	s_addc_u32 s9, s1, 0
	s_getpc_b64 s[0:1]
	s_add_u32 s0, s0, .str.29@rel32@lo+4
	s_addc_u32 s1, s1, .str.29@rel32@hi+12
	s_getpc_b64 s[2:3]
	s_add_u32 s2, s2, .str.19@rel32@lo+4
	s_addc_u32 s3, s3, .str.19@rel32@hi+12
	s_getpc_b64 s[4:5]
	s_add_u32 s4, s4, __PRETTY_FUNCTION__._ZN7VecsMemIjLi8192EE5fetchEi@rel32@lo+4
	s_addc_u32 s5, s5, __PRETTY_FUNCTION__._ZN7VecsMemIjLi8192EE5fetchEi@rel32@hi+12
	s_waitcnt vmcnt(0)
	v_dual_mov_b32 v0, s0 :: v_dual_mov_b32 v1, s1
	v_dual_mov_b32 v2, s2 :: v_dual_mov_b32 v3, s3
	;; [unrolled: 1-line block ×3, first 2 shown]
	v_mov_b32_e32 v6, s5
	s_getpc_b64 s[6:7]
	s_add_u32 s6, s6, __assert_fail@rel32@lo+4
	s_addc_u32 s7, s7, __assert_fail@rel32@hi+12
	s_delay_alu instid0(SALU_CYCLE_1) | instskip(SKIP_3) | instid1(SALU_CYCLE_1)
	s_swappc_b64 s[30:31], s[6:7]
	s_or_b32 s17, s17, exec_lo
	s_or_b32 exec_lo, exec_lo, s39
	s_and_saveexec_b32 s0, s38
	s_xor_b32 s38, exec_lo, s0
	s_cbranch_execz .LBB7_339
.LBB7_715:
	v_readlane_b32 s0, v123, 0
	v_readlane_b32 s1, v123, 1
	s_delay_alu instid0(VALU_DEP_2) | instskip(NEXT) | instid1(VALU_DEP_1)
	s_add_u32 s8, s0, 0x80
	s_addc_u32 s9, s1, 0
	s_getpc_b64 s[0:1]
	s_add_u32 s0, s0, .str.18@rel32@lo+4
	s_addc_u32 s1, s1, .str.18@rel32@hi+12
	s_getpc_b64 s[2:3]
	s_add_u32 s2, s2, .str.19@rel32@lo+4
	s_addc_u32 s3, s3, .str.19@rel32@hi+12
	s_getpc_b64 s[4:5]
	s_add_u32 s4, s4, __PRETTY_FUNCTION__._ZN7VecsMemIjLi8192EE6shrinkEi@rel32@lo+4
	s_addc_u32 s5, s5, __PRETTY_FUNCTION__._ZN7VecsMemIjLi8192EE6shrinkEi@rel32@hi+12
	v_dual_mov_b32 v0, s0 :: v_dual_mov_b32 v1, s1
	v_dual_mov_b32 v2, s2 :: v_dual_mov_b32 v3, s3
	;; [unrolled: 1-line block ×3, first 2 shown]
	s_waitcnt vmcnt(0)
	v_mov_b32_e32 v6, s5
	s_getpc_b64 s[6:7]
	s_add_u32 s6, s6, __assert_fail@rel32@lo+4
	s_addc_u32 s7, s7, __assert_fail@rel32@hi+12
	s_delay_alu instid0(SALU_CYCLE_1) | instskip(SKIP_3) | instid1(SALU_CYCLE_1)
	s_swappc_b64 s[30:31], s[6:7]
	s_or_b32 s17, s17, exec_lo
	s_or_b32 exec_lo, exec_lo, s38
	s_and_saveexec_b32 s0, s37
	s_xor_b32 s37, exec_lo, s0
	s_cbranch_execz .LBB7_340
.LBB7_716:
	v_readlane_b32 s0, v123, 0
	v_readlane_b32 s1, v123, 1
	s_delay_alu instid0(VALU_DEP_2) | instskip(NEXT) | instid1(VALU_DEP_1)
	s_add_u32 s8, s0, 0x80
	s_addc_u32 s9, s1, 0
	s_getpc_b64 s[0:1]
	s_add_u32 s0, s0, .str.18@rel32@lo+4
	s_addc_u32 s1, s1, .str.18@rel32@hi+12
	s_getpc_b64 s[2:3]
	s_add_u32 s2, s2, .str.19@rel32@lo+4
	s_addc_u32 s3, s3, .str.19@rel32@hi+12
	s_getpc_b64 s[4:5]
	s_add_u32 s4, s4, __PRETTY_FUNCTION__._ZN7VecsMemIjLi8192EE6shrinkEi@rel32@lo+4
	s_addc_u32 s5, s5, __PRETTY_FUNCTION__._ZN7VecsMemIjLi8192EE6shrinkEi@rel32@hi+12
	v_dual_mov_b32 v0, s0 :: v_dual_mov_b32 v1, s1
	v_dual_mov_b32 v2, s2 :: v_dual_mov_b32 v3, s3
	;; [unrolled: 1-line block ×3, first 2 shown]
	s_waitcnt vmcnt(0)
	v_mov_b32_e32 v6, s5
	s_getpc_b64 s[6:7]
	s_add_u32 s6, s6, __assert_fail@rel32@lo+4
	s_addc_u32 s7, s7, __assert_fail@rel32@hi+12
	s_delay_alu instid0(SALU_CYCLE_1) | instskip(SKIP_3) | instid1(SALU_CYCLE_1)
	s_swappc_b64 s[30:31], s[6:7]
	s_or_b32 s17, s17, exec_lo
	s_or_b32 exec_lo, exec_lo, s37
	s_and_saveexec_b32 s0, s36
	s_xor_b32 s36, exec_lo, s0
	s_cbranch_execnz .LBB7_341
	s_branch .LBB7_342
.LBB7_717:
	s_cbranch_execz .LBB7_745
; %bb.718:
	v_readfirstlane_b32 s0, v29
	s_waitcnt vmcnt(0)
	v_mov_b32_e32 v8, 0
	v_mov_b32_e32 v9, 0
	s_delay_alu instid0(VALU_DEP_3) | instskip(NEXT) | instid1(VALU_DEP_1)
	v_cmp_eq_u32_e64 s0, s0, v29
	s_and_saveexec_b32 s1, s0
	s_cbranch_execz .LBB7_724
; %bb.719:
	v_mov_b32_e32 v2, 0
	s_mov_b32 s4, exec_lo
	global_load_b64 v[5:6], v2, s[2:3] offset:24 glc
	s_waitcnt vmcnt(0)
	buffer_gl1_inv
	buffer_gl0_inv
	s_clause 0x1
	global_load_b64 v[3:4], v2, s[2:3] offset:40
	global_load_b64 v[7:8], v2, s[2:3]
	s_waitcnt vmcnt(1)
	v_and_b32_e32 v3, v3, v5
	v_and_b32_e32 v4, v4, v6
	s_delay_alu instid0(VALU_DEP_2) | instskip(NEXT) | instid1(VALU_DEP_2)
	v_mul_hi_u32 v9, v3, 24
	v_mul_lo_u32 v4, v4, 24
	v_mul_lo_u32 v3, v3, 24
	s_delay_alu instid0(VALU_DEP_2) | instskip(SKIP_1) | instid1(VALU_DEP_2)
	v_add_nc_u32_e32 v4, v9, v4
	s_waitcnt vmcnt(0)
	v_add_co_u32 v3, vcc_lo, v7, v3
	s_delay_alu instid0(VALU_DEP_2)
	v_add_co_ci_u32_e32 v4, vcc_lo, v8, v4, vcc_lo
	global_load_b64 v[3:4], v[3:4], off glc
	s_waitcnt vmcnt(0)
	global_atomic_cmpswap_b64 v[8:9], v2, v[3:6], s[2:3] offset:24 glc
	s_waitcnt vmcnt(0)
	buffer_gl1_inv
	buffer_gl0_inv
	v_cmpx_ne_u64_e64 v[8:9], v[5:6]
	s_cbranch_execz .LBB7_723
; %bb.720:
	s_mov_b32 s5, 0
	.p2align	6
.LBB7_721:                              ; =>This Inner Loop Header: Depth=1
	s_sleep 1
	s_clause 0x1
	global_load_b64 v[3:4], v2, s[2:3] offset:40
	global_load_b64 v[10:11], v2, s[2:3]
	v_dual_mov_b32 v5, v8 :: v_dual_mov_b32 v6, v9
	s_waitcnt vmcnt(1)
	s_delay_alu instid0(VALU_DEP_1) | instskip(NEXT) | instid1(VALU_DEP_2)
	v_and_b32_e32 v3, v3, v5
	v_and_b32_e32 v4, v4, v6
	s_waitcnt vmcnt(0)
	s_delay_alu instid0(VALU_DEP_2) | instskip(NEXT) | instid1(VALU_DEP_1)
	v_mad_u64_u32 v[7:8], null, v3, 24, v[10:11]
	v_mov_b32_e32 v3, v8
	s_delay_alu instid0(VALU_DEP_1)
	v_mad_u64_u32 v[8:9], null, v4, 24, v[3:4]
	global_load_b64 v[3:4], v[7:8], off glc
	s_waitcnt vmcnt(0)
	global_atomic_cmpswap_b64 v[8:9], v2, v[3:6], s[2:3] offset:24 glc
	s_waitcnt vmcnt(0)
	buffer_gl1_inv
	buffer_gl0_inv
	v_cmp_eq_u64_e32 vcc_lo, v[8:9], v[5:6]
	s_or_b32 s5, vcc_lo, s5
	s_delay_alu instid0(SALU_CYCLE_1)
	s_and_not1_b32 exec_lo, exec_lo, s5
	s_cbranch_execnz .LBB7_721
; %bb.722:
	s_or_b32 exec_lo, exec_lo, s5
.LBB7_723:
	s_delay_alu instid0(SALU_CYCLE_1)
	s_or_b32 exec_lo, exec_lo, s4
.LBB7_724:
	s_delay_alu instid0(SALU_CYCLE_1)
	s_or_b32 exec_lo, exec_lo, s1
	v_mov_b32_e32 v2, 0
	v_readfirstlane_b32 s4, v8
	v_readfirstlane_b32 s5, v9
	s_mov_b32 s1, exec_lo
	s_clause 0x1
	global_load_b64 v[10:11], v2, s[2:3] offset:40
	global_load_b128 v[4:7], v2, s[2:3]
	s_waitcnt vmcnt(1)
	v_readfirstlane_b32 s6, v10
	v_readfirstlane_b32 s7, v11
	s_delay_alu instid0(VALU_DEP_1) | instskip(NEXT) | instid1(SALU_CYCLE_1)
	s_and_b64 s[6:7], s[4:5], s[6:7]
	s_mul_i32 s8, s7, 24
	s_mul_hi_u32 s9, s6, 24
	s_mul_i32 s10, s6, 24
	s_add_i32 s9, s9, s8
	s_waitcnt vmcnt(0)
	v_add_co_u32 v8, vcc_lo, v4, s10
	v_add_co_ci_u32_e32 v9, vcc_lo, s9, v5, vcc_lo
	s_and_saveexec_b32 s8, s0
	s_cbranch_execz .LBB7_726
; %bb.725:
	v_dual_mov_b32 v10, s1 :: v_dual_mov_b32 v11, v2
	v_dual_mov_b32 v12, 2 :: v_dual_mov_b32 v13, 1
	global_store_b128 v[8:9], v[10:13], off offset:8
.LBB7_726:
	s_or_b32 exec_lo, exec_lo, s8
	s_lshl_b64 s[6:7], s[6:7], 12
	s_mov_b32 s8, 0
	v_add_co_u32 v6, vcc_lo, v6, s6
	v_add_co_ci_u32_e32 v7, vcc_lo, s7, v7, vcc_lo
	s_mov_b32 s11, s8
	s_mov_b32 s9, s8
	;; [unrolled: 1-line block ×3, first 2 shown]
	v_and_or_b32 v0, 0xffffff1d, v0, 34
	v_mov_b32_e32 v3, v2
	v_readfirstlane_b32 s6, v6
	v_readfirstlane_b32 s7, v7
	v_dual_mov_b32 v13, s11 :: v_dual_mov_b32 v10, s8
	v_dual_mov_b32 v12, s10 :: v_dual_mov_b32 v11, s9
	s_clause 0x3
	global_store_b128 v28, v[0:3], s[6:7]
	global_store_b128 v28, v[10:13], s[6:7] offset:16
	global_store_b128 v28, v[10:13], s[6:7] offset:32
	;; [unrolled: 1-line block ×3, first 2 shown]
	s_and_saveexec_b32 s1, s0
	s_cbranch_execz .LBB7_734
; %bb.727:
	v_dual_mov_b32 v6, 0 :: v_dual_mov_b32 v11, s5
	v_mov_b32_e32 v10, s4
	s_clause 0x1
	global_load_b64 v[12:13], v6, s[2:3] offset:32 glc
	global_load_b64 v[0:1], v6, s[2:3] offset:40
	s_waitcnt vmcnt(0)
	v_readfirstlane_b32 s6, v0
	v_readfirstlane_b32 s7, v1
	s_delay_alu instid0(VALU_DEP_1) | instskip(NEXT) | instid1(SALU_CYCLE_1)
	s_and_b64 s[6:7], s[6:7], s[4:5]
	s_mul_i32 s7, s7, 24
	s_mul_hi_u32 s8, s6, 24
	s_mul_i32 s6, s6, 24
	s_add_i32 s8, s8, s7
	v_add_co_u32 v4, vcc_lo, v4, s6
	v_add_co_ci_u32_e32 v5, vcc_lo, s8, v5, vcc_lo
	s_mov_b32 s6, exec_lo
	global_store_b64 v[4:5], v[12:13], off
	s_waitcnt_vscnt null, 0x0
	global_atomic_cmpswap_b64 v[2:3], v6, v[10:13], s[2:3] offset:32 glc
	s_waitcnt vmcnt(0)
	v_cmpx_ne_u64_e64 v[2:3], v[12:13]
	s_cbranch_execz .LBB7_730
; %bb.728:
	s_mov_b32 s7, 0
.LBB7_729:                              ; =>This Inner Loop Header: Depth=1
	v_dual_mov_b32 v0, s4 :: v_dual_mov_b32 v1, s5
	s_sleep 1
	global_store_b64 v[4:5], v[2:3], off
	s_waitcnt_vscnt null, 0x0
	global_atomic_cmpswap_b64 v[0:1], v6, v[0:3], s[2:3] offset:32 glc
	s_waitcnt vmcnt(0)
	v_cmp_eq_u64_e32 vcc_lo, v[0:1], v[2:3]
	v_dual_mov_b32 v3, v1 :: v_dual_mov_b32 v2, v0
	s_or_b32 s7, vcc_lo, s7
	s_delay_alu instid0(SALU_CYCLE_1)
	s_and_not1_b32 exec_lo, exec_lo, s7
	s_cbranch_execnz .LBB7_729
.LBB7_730:
	s_or_b32 exec_lo, exec_lo, s6
	v_mov_b32_e32 v3, 0
	s_mov_b32 s7, exec_lo
	s_mov_b32 s6, exec_lo
	v_mbcnt_lo_u32_b32 v2, s7, 0
	global_load_b64 v[0:1], v3, s[2:3] offset:16
	v_cmpx_eq_u32_e32 0, v2
	s_cbranch_execz .LBB7_732
; %bb.731:
	s_bcnt1_i32_b32 s7, s7
	s_delay_alu instid0(SALU_CYCLE_1)
	v_mov_b32_e32 v2, s7
	s_waitcnt vmcnt(0)
	global_atomic_add_u64 v[0:1], v[2:3], off offset:8
.LBB7_732:
	s_or_b32 exec_lo, exec_lo, s6
	s_waitcnt vmcnt(0)
	global_load_b64 v[2:3], v[0:1], off offset:16
	s_waitcnt vmcnt(0)
	v_cmp_eq_u64_e32 vcc_lo, 0, v[2:3]
	s_cbranch_vccnz .LBB7_734
; %bb.733:
	global_load_b32 v0, v[0:1], off offset:24
	s_waitcnt vmcnt(0)
	v_dual_mov_b32 v1, 0 :: v_dual_and_b32 v4, 0xffffff, v0
	s_waitcnt_vscnt null, 0x0
	global_store_b64 v[2:3], v[0:1], off
	v_readfirstlane_b32 m0, v4
	s_sendmsg sendmsg(MSG_INTERRUPT)
.LBB7_734:
	s_or_b32 exec_lo, exec_lo, s1
	s_branch .LBB7_738
	.p2align	6
.LBB7_735:                              ;   in Loop: Header=BB7_738 Depth=1
	s_or_b32 exec_lo, exec_lo, s1
	s_delay_alu instid0(VALU_DEP_1) | instskip(NEXT) | instid1(VALU_DEP_1)
	v_readfirstlane_b32 s1, v0
	s_cmp_eq_u32 s1, 0
	s_cbranch_scc1 .LBB7_737
; %bb.736:                              ;   in Loop: Header=BB7_738 Depth=1
	s_sleep 1
	s_cbranch_execnz .LBB7_738
	s_branch .LBB7_740
	.p2align	6
.LBB7_737:
	s_branch .LBB7_740
.LBB7_738:                              ; =>This Inner Loop Header: Depth=1
	v_mov_b32_e32 v0, 1
	s_and_saveexec_b32 s1, s0
	s_cbranch_execz .LBB7_735
; %bb.739:                              ;   in Loop: Header=BB7_738 Depth=1
	global_load_b32 v0, v[8:9], off offset:20 glc
	s_waitcnt vmcnt(0)
	buffer_gl1_inv
	buffer_gl0_inv
	v_and_b32_e32 v0, 1, v0
	s_branch .LBB7_735
.LBB7_740:
	s_and_saveexec_b32 s1, s0
	s_cbranch_execz .LBB7_744
; %bb.741:
	v_mov_b32_e32 v6, 0
	s_clause 0x2
	global_load_b64 v[2:3], v6, s[2:3] offset:40
	global_load_b64 v[7:8], v6, s[2:3] offset:24 glc
	global_load_b64 v[4:5], v6, s[2:3]
	s_waitcnt vmcnt(2)
	v_add_co_u32 v9, vcc_lo, v2, 1
	v_add_co_ci_u32_e32 v10, vcc_lo, 0, v3, vcc_lo
	s_delay_alu instid0(VALU_DEP_2) | instskip(NEXT) | instid1(VALU_DEP_2)
	v_add_co_u32 v0, vcc_lo, v9, s4
	v_add_co_ci_u32_e32 v1, vcc_lo, s5, v10, vcc_lo
	s_delay_alu instid0(VALU_DEP_1) | instskip(SKIP_1) | instid1(VALU_DEP_1)
	v_cmp_eq_u64_e32 vcc_lo, 0, v[0:1]
	v_dual_cndmask_b32 v1, v1, v10 :: v_dual_cndmask_b32 v0, v0, v9
	v_and_b32_e32 v3, v1, v3
	s_delay_alu instid0(VALU_DEP_2) | instskip(NEXT) | instid1(VALU_DEP_2)
	v_and_b32_e32 v2, v0, v2
	v_mul_lo_u32 v3, v3, 24
	s_delay_alu instid0(VALU_DEP_2) | instskip(SKIP_1) | instid1(VALU_DEP_2)
	v_mul_hi_u32 v9, v2, 24
	v_mul_lo_u32 v2, v2, 24
	v_add_nc_u32_e32 v3, v9, v3
	s_waitcnt vmcnt(0)
	s_delay_alu instid0(VALU_DEP_2) | instskip(SKIP_1) | instid1(VALU_DEP_3)
	v_add_co_u32 v4, vcc_lo, v4, v2
	v_mov_b32_e32 v2, v7
	v_add_co_ci_u32_e32 v5, vcc_lo, v5, v3, vcc_lo
	v_mov_b32_e32 v3, v8
	global_store_b64 v[4:5], v[7:8], off
	s_waitcnt_vscnt null, 0x0
	global_atomic_cmpswap_b64 v[2:3], v6, v[0:3], s[2:3] offset:24 glc
	s_waitcnt vmcnt(0)
	v_cmp_ne_u64_e32 vcc_lo, v[2:3], v[7:8]
	s_and_b32 exec_lo, exec_lo, vcc_lo
	s_cbranch_execz .LBB7_744
; %bb.742:
	s_mov_b32 s0, 0
.LBB7_743:                              ; =>This Inner Loop Header: Depth=1
	s_sleep 1
	global_store_b64 v[4:5], v[2:3], off
	s_waitcnt_vscnt null, 0x0
	global_atomic_cmpswap_b64 v[7:8], v6, v[0:3], s[2:3] offset:24 glc
	s_waitcnt vmcnt(0)
	v_cmp_eq_u64_e32 vcc_lo, v[7:8], v[2:3]
	v_dual_mov_b32 v2, v7 :: v_dual_mov_b32 v3, v8
	s_or_b32 s0, vcc_lo, s0
	s_delay_alu instid0(SALU_CYCLE_1)
	s_and_not1_b32 exec_lo, exec_lo, s0
	s_cbranch_execnz .LBB7_743
.LBB7_744:
	s_or_b32 exec_lo, exec_lo, s1
.LBB7_745:
	v_readlane_b32 s0, v123, 0
	v_readlane_b32 s1, v123, 1
	s_delay_alu instid0(VALU_DEP_2) | instskip(NEXT) | instid1(VALU_DEP_1)
	s_add_u32 s8, s0, 0x80
	s_addc_u32 s9, s1, 0
	s_getpc_b64 s[0:1]
	s_add_u32 s0, s0, .str.29@rel32@lo+4
	s_addc_u32 s1, s1, .str.29@rel32@hi+12
	s_getpc_b64 s[2:3]
	s_add_u32 s2, s2, .str.19@rel32@lo+4
	s_addc_u32 s3, s3, .str.19@rel32@hi+12
	s_getpc_b64 s[4:5]
	s_add_u32 s4, s4, __PRETTY_FUNCTION__._ZN7VecsMemIjLi8192EE5fetchEi@rel32@lo+4
	s_addc_u32 s5, s5, __PRETTY_FUNCTION__._ZN7VecsMemIjLi8192EE5fetchEi@rel32@hi+12
	s_waitcnt vmcnt(0)
	v_dual_mov_b32 v0, s0 :: v_dual_mov_b32 v1, s1
	v_dual_mov_b32 v2, s2 :: v_dual_mov_b32 v3, s3
	;; [unrolled: 1-line block ×3, first 2 shown]
	v_mov_b32_e32 v6, s5
	s_getpc_b64 s[6:7]
	s_add_u32 s6, s6, __assert_fail@rel32@lo+4
	s_addc_u32 s7, s7, __assert_fail@rel32@hi+12
	s_delay_alu instid0(SALU_CYCLE_1) | instskip(SKIP_3) | instid1(SALU_CYCLE_1)
	s_swappc_b64 s[30:31], s[6:7]
	s_or_b32 s17, s17, exec_lo
	s_or_b32 exec_lo, exec_lo, s36
	s_and_saveexec_b32 s0, s34
	s_xor_b32 s34, exec_lo, s0
	s_cbranch_execz .LBB7_344
.LBB7_746:
	v_readlane_b32 s0, v123, 0
	v_readlane_b32 s1, v123, 1
	s_delay_alu instid0(VALU_DEP_2) | instskip(NEXT) | instid1(VALU_DEP_1)
	s_add_u32 s8, s0, 0x80
	s_addc_u32 s9, s1, 0
	s_getpc_b64 s[0:1]
	s_add_u32 s0, s0, .str.18@rel32@lo+4
	s_addc_u32 s1, s1, .str.18@rel32@hi+12
	s_getpc_b64 s[2:3]
	s_add_u32 s2, s2, .str.19@rel32@lo+4
	s_addc_u32 s3, s3, .str.19@rel32@hi+12
	s_getpc_b64 s[4:5]
	s_add_u32 s4, s4, __PRETTY_FUNCTION__._ZN7VecsMemIjLi8192EE6shrinkEi@rel32@lo+4
	s_addc_u32 s5, s5, __PRETTY_FUNCTION__._ZN7VecsMemIjLi8192EE6shrinkEi@rel32@hi+12
	v_dual_mov_b32 v0, s0 :: v_dual_mov_b32 v1, s1
	v_dual_mov_b32 v2, s2 :: v_dual_mov_b32 v3, s3
	;; [unrolled: 1-line block ×3, first 2 shown]
	s_waitcnt vmcnt(0)
	v_mov_b32_e32 v6, s5
	s_getpc_b64 s[6:7]
	s_add_u32 s6, s6, __assert_fail@rel32@lo+4
	s_addc_u32 s7, s7, __assert_fail@rel32@hi+12
	s_delay_alu instid0(SALU_CYCLE_1) | instskip(SKIP_3) | instid1(SALU_CYCLE_1)
	s_swappc_b64 s[30:31], s[6:7]
	s_or_b32 s17, s17, exec_lo
	s_or_b32 exec_lo, exec_lo, s34
	s_and_saveexec_b32 s0, s29
	s_xor_b32 s29, exec_lo, s0
	s_cbranch_execnz .LBB7_345
	s_branch .LBB7_346
.LBB7_747:
	s_cbranch_execz .LBB7_775
; %bb.748:
	v_readfirstlane_b32 s0, v29
	s_waitcnt vmcnt(0)
	v_mov_b32_e32 v8, 0
	v_mov_b32_e32 v9, 0
	s_delay_alu instid0(VALU_DEP_3) | instskip(NEXT) | instid1(VALU_DEP_1)
	v_cmp_eq_u32_e64 s0, s0, v29
	s_and_saveexec_b32 s1, s0
	s_cbranch_execz .LBB7_754
; %bb.749:
	v_mov_b32_e32 v2, 0
	s_mov_b32 s4, exec_lo
	global_load_b64 v[5:6], v2, s[2:3] offset:24 glc
	s_waitcnt vmcnt(0)
	buffer_gl1_inv
	buffer_gl0_inv
	s_clause 0x1
	global_load_b64 v[3:4], v2, s[2:3] offset:40
	global_load_b64 v[7:8], v2, s[2:3]
	s_waitcnt vmcnt(1)
	v_and_b32_e32 v3, v3, v5
	v_and_b32_e32 v4, v4, v6
	s_delay_alu instid0(VALU_DEP_2) | instskip(NEXT) | instid1(VALU_DEP_2)
	v_mul_hi_u32 v9, v3, 24
	v_mul_lo_u32 v4, v4, 24
	v_mul_lo_u32 v3, v3, 24
	s_delay_alu instid0(VALU_DEP_2) | instskip(SKIP_1) | instid1(VALU_DEP_2)
	v_add_nc_u32_e32 v4, v9, v4
	s_waitcnt vmcnt(0)
	v_add_co_u32 v3, vcc_lo, v7, v3
	s_delay_alu instid0(VALU_DEP_2)
	v_add_co_ci_u32_e32 v4, vcc_lo, v8, v4, vcc_lo
	global_load_b64 v[3:4], v[3:4], off glc
	s_waitcnt vmcnt(0)
	global_atomic_cmpswap_b64 v[8:9], v2, v[3:6], s[2:3] offset:24 glc
	s_waitcnt vmcnt(0)
	buffer_gl1_inv
	buffer_gl0_inv
	v_cmpx_ne_u64_e64 v[8:9], v[5:6]
	s_cbranch_execz .LBB7_753
; %bb.750:
	s_mov_b32 s5, 0
	.p2align	6
.LBB7_751:                              ; =>This Inner Loop Header: Depth=1
	s_sleep 1
	s_clause 0x1
	global_load_b64 v[3:4], v2, s[2:3] offset:40
	global_load_b64 v[10:11], v2, s[2:3]
	v_dual_mov_b32 v5, v8 :: v_dual_mov_b32 v6, v9
	s_waitcnt vmcnt(1)
	s_delay_alu instid0(VALU_DEP_1) | instskip(NEXT) | instid1(VALU_DEP_2)
	v_and_b32_e32 v3, v3, v5
	v_and_b32_e32 v4, v4, v6
	s_waitcnt vmcnt(0)
	s_delay_alu instid0(VALU_DEP_2) | instskip(NEXT) | instid1(VALU_DEP_1)
	v_mad_u64_u32 v[7:8], null, v3, 24, v[10:11]
	v_mov_b32_e32 v3, v8
	s_delay_alu instid0(VALU_DEP_1)
	v_mad_u64_u32 v[8:9], null, v4, 24, v[3:4]
	global_load_b64 v[3:4], v[7:8], off glc
	s_waitcnt vmcnt(0)
	global_atomic_cmpswap_b64 v[8:9], v2, v[3:6], s[2:3] offset:24 glc
	s_waitcnt vmcnt(0)
	buffer_gl1_inv
	buffer_gl0_inv
	v_cmp_eq_u64_e32 vcc_lo, v[8:9], v[5:6]
	s_or_b32 s5, vcc_lo, s5
	s_delay_alu instid0(SALU_CYCLE_1)
	s_and_not1_b32 exec_lo, exec_lo, s5
	s_cbranch_execnz .LBB7_751
; %bb.752:
	s_or_b32 exec_lo, exec_lo, s5
.LBB7_753:
	s_delay_alu instid0(SALU_CYCLE_1)
	s_or_b32 exec_lo, exec_lo, s4
.LBB7_754:
	s_delay_alu instid0(SALU_CYCLE_1)
	s_or_b32 exec_lo, exec_lo, s1
	v_mov_b32_e32 v2, 0
	v_readfirstlane_b32 s4, v8
	v_readfirstlane_b32 s5, v9
	s_mov_b32 s1, exec_lo
	s_clause 0x1
	global_load_b64 v[10:11], v2, s[2:3] offset:40
	global_load_b128 v[4:7], v2, s[2:3]
	s_waitcnt vmcnt(1)
	v_readfirstlane_b32 s6, v10
	v_readfirstlane_b32 s7, v11
	s_delay_alu instid0(VALU_DEP_1) | instskip(NEXT) | instid1(SALU_CYCLE_1)
	s_and_b64 s[6:7], s[4:5], s[6:7]
	s_mul_i32 s8, s7, 24
	s_mul_hi_u32 s9, s6, 24
	s_mul_i32 s10, s6, 24
	s_add_i32 s9, s9, s8
	s_waitcnt vmcnt(0)
	v_add_co_u32 v8, vcc_lo, v4, s10
	v_add_co_ci_u32_e32 v9, vcc_lo, s9, v5, vcc_lo
	s_and_saveexec_b32 s8, s0
	s_cbranch_execz .LBB7_756
; %bb.755:
	v_dual_mov_b32 v10, s1 :: v_dual_mov_b32 v11, v2
	v_dual_mov_b32 v12, 2 :: v_dual_mov_b32 v13, 1
	global_store_b128 v[8:9], v[10:13], off offset:8
.LBB7_756:
	s_or_b32 exec_lo, exec_lo, s8
	s_lshl_b64 s[6:7], s[6:7], 12
	s_mov_b32 s8, 0
	v_add_co_u32 v6, vcc_lo, v6, s6
	v_add_co_ci_u32_e32 v7, vcc_lo, s7, v7, vcc_lo
	s_mov_b32 s11, s8
	s_mov_b32 s9, s8
	;; [unrolled: 1-line block ×3, first 2 shown]
	v_and_or_b32 v0, 0xffffff1d, v0, 34
	v_mov_b32_e32 v3, v2
	v_readfirstlane_b32 s6, v6
	v_readfirstlane_b32 s7, v7
	v_dual_mov_b32 v13, s11 :: v_dual_mov_b32 v10, s8
	v_dual_mov_b32 v12, s10 :: v_dual_mov_b32 v11, s9
	s_clause 0x3
	global_store_b128 v28, v[0:3], s[6:7]
	global_store_b128 v28, v[10:13], s[6:7] offset:16
	global_store_b128 v28, v[10:13], s[6:7] offset:32
	;; [unrolled: 1-line block ×3, first 2 shown]
	s_and_saveexec_b32 s1, s0
	s_cbranch_execz .LBB7_764
; %bb.757:
	v_dual_mov_b32 v6, 0 :: v_dual_mov_b32 v11, s5
	v_mov_b32_e32 v10, s4
	s_clause 0x1
	global_load_b64 v[12:13], v6, s[2:3] offset:32 glc
	global_load_b64 v[0:1], v6, s[2:3] offset:40
	s_waitcnt vmcnt(0)
	v_readfirstlane_b32 s6, v0
	v_readfirstlane_b32 s7, v1
	s_delay_alu instid0(VALU_DEP_1) | instskip(NEXT) | instid1(SALU_CYCLE_1)
	s_and_b64 s[6:7], s[6:7], s[4:5]
	s_mul_i32 s7, s7, 24
	s_mul_hi_u32 s8, s6, 24
	s_mul_i32 s6, s6, 24
	s_add_i32 s8, s8, s7
	v_add_co_u32 v4, vcc_lo, v4, s6
	v_add_co_ci_u32_e32 v5, vcc_lo, s8, v5, vcc_lo
	s_mov_b32 s6, exec_lo
	global_store_b64 v[4:5], v[12:13], off
	s_waitcnt_vscnt null, 0x0
	global_atomic_cmpswap_b64 v[2:3], v6, v[10:13], s[2:3] offset:32 glc
	s_waitcnt vmcnt(0)
	v_cmpx_ne_u64_e64 v[2:3], v[12:13]
	s_cbranch_execz .LBB7_760
; %bb.758:
	s_mov_b32 s7, 0
.LBB7_759:                              ; =>This Inner Loop Header: Depth=1
	v_dual_mov_b32 v0, s4 :: v_dual_mov_b32 v1, s5
	s_sleep 1
	global_store_b64 v[4:5], v[2:3], off
	s_waitcnt_vscnt null, 0x0
	global_atomic_cmpswap_b64 v[0:1], v6, v[0:3], s[2:3] offset:32 glc
	s_waitcnt vmcnt(0)
	v_cmp_eq_u64_e32 vcc_lo, v[0:1], v[2:3]
	v_dual_mov_b32 v3, v1 :: v_dual_mov_b32 v2, v0
	s_or_b32 s7, vcc_lo, s7
	s_delay_alu instid0(SALU_CYCLE_1)
	s_and_not1_b32 exec_lo, exec_lo, s7
	s_cbranch_execnz .LBB7_759
.LBB7_760:
	s_or_b32 exec_lo, exec_lo, s6
	v_mov_b32_e32 v3, 0
	s_mov_b32 s7, exec_lo
	s_mov_b32 s6, exec_lo
	v_mbcnt_lo_u32_b32 v2, s7, 0
	global_load_b64 v[0:1], v3, s[2:3] offset:16
	v_cmpx_eq_u32_e32 0, v2
	s_cbranch_execz .LBB7_762
; %bb.761:
	s_bcnt1_i32_b32 s7, s7
	s_delay_alu instid0(SALU_CYCLE_1)
	v_mov_b32_e32 v2, s7
	s_waitcnt vmcnt(0)
	global_atomic_add_u64 v[0:1], v[2:3], off offset:8
.LBB7_762:
	s_or_b32 exec_lo, exec_lo, s6
	s_waitcnt vmcnt(0)
	global_load_b64 v[2:3], v[0:1], off offset:16
	s_waitcnt vmcnt(0)
	v_cmp_eq_u64_e32 vcc_lo, 0, v[2:3]
	s_cbranch_vccnz .LBB7_764
; %bb.763:
	global_load_b32 v0, v[0:1], off offset:24
	s_waitcnt vmcnt(0)
	v_dual_mov_b32 v1, 0 :: v_dual_and_b32 v4, 0xffffff, v0
	s_waitcnt_vscnt null, 0x0
	global_store_b64 v[2:3], v[0:1], off
	v_readfirstlane_b32 m0, v4
	s_sendmsg sendmsg(MSG_INTERRUPT)
.LBB7_764:
	s_or_b32 exec_lo, exec_lo, s1
	s_branch .LBB7_768
	.p2align	6
.LBB7_765:                              ;   in Loop: Header=BB7_768 Depth=1
	s_or_b32 exec_lo, exec_lo, s1
	s_delay_alu instid0(VALU_DEP_1) | instskip(NEXT) | instid1(VALU_DEP_1)
	v_readfirstlane_b32 s1, v0
	s_cmp_eq_u32 s1, 0
	s_cbranch_scc1 .LBB7_767
; %bb.766:                              ;   in Loop: Header=BB7_768 Depth=1
	s_sleep 1
	s_cbranch_execnz .LBB7_768
	s_branch .LBB7_770
	.p2align	6
.LBB7_767:
	s_branch .LBB7_770
.LBB7_768:                              ; =>This Inner Loop Header: Depth=1
	v_mov_b32_e32 v0, 1
	s_and_saveexec_b32 s1, s0
	s_cbranch_execz .LBB7_765
; %bb.769:                              ;   in Loop: Header=BB7_768 Depth=1
	global_load_b32 v0, v[8:9], off offset:20 glc
	s_waitcnt vmcnt(0)
	buffer_gl1_inv
	buffer_gl0_inv
	v_and_b32_e32 v0, 1, v0
	s_branch .LBB7_765
.LBB7_770:
	s_and_saveexec_b32 s1, s0
	s_cbranch_execz .LBB7_774
; %bb.771:
	v_mov_b32_e32 v6, 0
	s_clause 0x2
	global_load_b64 v[2:3], v6, s[2:3] offset:40
	global_load_b64 v[7:8], v6, s[2:3] offset:24 glc
	global_load_b64 v[4:5], v6, s[2:3]
	s_waitcnt vmcnt(2)
	v_add_co_u32 v9, vcc_lo, v2, 1
	v_add_co_ci_u32_e32 v10, vcc_lo, 0, v3, vcc_lo
	s_delay_alu instid0(VALU_DEP_2) | instskip(NEXT) | instid1(VALU_DEP_2)
	v_add_co_u32 v0, vcc_lo, v9, s4
	v_add_co_ci_u32_e32 v1, vcc_lo, s5, v10, vcc_lo
	s_delay_alu instid0(VALU_DEP_1) | instskip(SKIP_1) | instid1(VALU_DEP_1)
	v_cmp_eq_u64_e32 vcc_lo, 0, v[0:1]
	v_dual_cndmask_b32 v1, v1, v10 :: v_dual_cndmask_b32 v0, v0, v9
	v_and_b32_e32 v3, v1, v3
	s_delay_alu instid0(VALU_DEP_2) | instskip(NEXT) | instid1(VALU_DEP_2)
	v_and_b32_e32 v2, v0, v2
	v_mul_lo_u32 v3, v3, 24
	s_delay_alu instid0(VALU_DEP_2) | instskip(SKIP_1) | instid1(VALU_DEP_2)
	v_mul_hi_u32 v9, v2, 24
	v_mul_lo_u32 v2, v2, 24
	v_add_nc_u32_e32 v3, v9, v3
	s_waitcnt vmcnt(0)
	s_delay_alu instid0(VALU_DEP_2) | instskip(SKIP_1) | instid1(VALU_DEP_3)
	v_add_co_u32 v4, vcc_lo, v4, v2
	v_mov_b32_e32 v2, v7
	v_add_co_ci_u32_e32 v5, vcc_lo, v5, v3, vcc_lo
	v_mov_b32_e32 v3, v8
	global_store_b64 v[4:5], v[7:8], off
	s_waitcnt_vscnt null, 0x0
	global_atomic_cmpswap_b64 v[2:3], v6, v[0:3], s[2:3] offset:24 glc
	s_waitcnt vmcnt(0)
	v_cmp_ne_u64_e32 vcc_lo, v[2:3], v[7:8]
	s_and_b32 exec_lo, exec_lo, vcc_lo
	s_cbranch_execz .LBB7_774
; %bb.772:
	s_mov_b32 s0, 0
.LBB7_773:                              ; =>This Inner Loop Header: Depth=1
	s_sleep 1
	global_store_b64 v[4:5], v[2:3], off
	s_waitcnt_vscnt null, 0x0
	global_atomic_cmpswap_b64 v[7:8], v6, v[0:3], s[2:3] offset:24 glc
	s_waitcnt vmcnt(0)
	v_cmp_eq_u64_e32 vcc_lo, v[7:8], v[2:3]
	v_dual_mov_b32 v2, v7 :: v_dual_mov_b32 v3, v8
	s_or_b32 s0, vcc_lo, s0
	s_delay_alu instid0(SALU_CYCLE_1)
	s_and_not1_b32 exec_lo, exec_lo, s0
	s_cbranch_execnz .LBB7_773
.LBB7_774:
	s_or_b32 exec_lo, exec_lo, s1
.LBB7_775:
	v_readlane_b32 s0, v123, 0
	v_readlane_b32 s1, v123, 1
	s_delay_alu instid0(VALU_DEP_2) | instskip(NEXT) | instid1(VALU_DEP_1)
	s_add_u32 s8, s0, 0x80
	s_addc_u32 s9, s1, 0
	s_getpc_b64 s[0:1]
	s_add_u32 s0, s0, .str.29@rel32@lo+4
	s_addc_u32 s1, s1, .str.29@rel32@hi+12
	s_getpc_b64 s[2:3]
	s_add_u32 s2, s2, .str.19@rel32@lo+4
	s_addc_u32 s3, s3, .str.19@rel32@hi+12
	s_getpc_b64 s[4:5]
	s_add_u32 s4, s4, __PRETTY_FUNCTION__._ZN7VecsMemIjLi8192EE5fetchEi@rel32@lo+4
	s_addc_u32 s5, s5, __PRETTY_FUNCTION__._ZN7VecsMemIjLi8192EE5fetchEi@rel32@hi+12
	s_waitcnt vmcnt(0)
	v_dual_mov_b32 v0, s0 :: v_dual_mov_b32 v1, s1
	v_dual_mov_b32 v2, s2 :: v_dual_mov_b32 v3, s3
	;; [unrolled: 1-line block ×3, first 2 shown]
	v_mov_b32_e32 v6, s5
	s_getpc_b64 s[6:7]
	s_add_u32 s6, s6, __assert_fail@rel32@lo+4
	s_addc_u32 s7, s7, __assert_fail@rel32@hi+12
	s_delay_alu instid0(SALU_CYCLE_1) | instskip(SKIP_3) | instid1(SALU_CYCLE_1)
	s_swappc_b64 s[30:31], s[6:7]
	s_or_b32 s17, s17, exec_lo
	s_or_b32 exec_lo, exec_lo, s26
	s_and_saveexec_b32 s0, s24
	s_xor_b32 s24, exec_lo, s0
	s_cbranch_execz .LBB7_354
.LBB7_776:
	v_readlane_b32 s0, v123, 0
	v_readlane_b32 s1, v123, 1
	s_delay_alu instid0(VALU_DEP_2) | instskip(NEXT) | instid1(VALU_DEP_1)
	s_add_u32 s8, s0, 0x80
	s_addc_u32 s9, s1, 0
	s_getpc_b64 s[0:1]
	s_add_u32 s0, s0, .str.30@rel32@lo+4
	s_addc_u32 s1, s1, .str.30@rel32@hi+12
	s_getpc_b64 s[2:3]
	s_add_u32 s2, s2, .str.31@rel32@lo+4
	s_addc_u32 s3, s3, .str.31@rel32@hi+12
	s_getpc_b64 s[4:5]
	s_add_u32 s4, s4, __PRETTY_FUNCTION__._ZN3sop9sopFactorEPjiiPKiiP7VecsMemIjLi8192EEPN8subgUtil4SubgILi256EEE@rel32@lo+4
	s_addc_u32 s5, s5, __PRETTY_FUNCTION__._ZN3sop9sopFactorEPjiiPKiiP7VecsMemIjLi8192EEPN8subgUtil4SubgILi256EEE@rel32@hi+12
	v_dual_mov_b32 v0, s0 :: v_dual_mov_b32 v1, s1
	v_dual_mov_b32 v2, s2 :: v_dual_mov_b32 v3, s3
	;; [unrolled: 1-line block ×3, first 2 shown]
	s_waitcnt vmcnt(0)
	v_mov_b32_e32 v6, s5
	s_getpc_b64 s[6:7]
	s_add_u32 s6, s6, __assert_fail@rel32@lo+4
	s_addc_u32 s7, s7, __assert_fail@rel32@hi+12
	s_delay_alu instid0(SALU_CYCLE_1)
	s_swappc_b64 s[30:31], s[6:7]
	s_or_b32 s17, s17, exec_lo
	s_or_b32 exec_lo, exec_lo, s24
	s_and_saveexec_b32 s24, s23
	s_cbranch_execz .LBB7_355
.LBB7_777:
	v_readlane_b32 s0, v123, 0
	v_readlane_b32 s1, v123, 1
	s_delay_alu instid0(VALU_DEP_2) | instskip(NEXT) | instid1(VALU_DEP_1)
	s_add_u32 s8, s0, 0x80
	s_addc_u32 s9, s1, 0
	s_getpc_b64 s[0:1]
	s_add_u32 s0, s0, .str.18@rel32@lo+4
	s_addc_u32 s1, s1, .str.18@rel32@hi+12
	s_getpc_b64 s[2:3]
	s_add_u32 s2, s2, .str.19@rel32@lo+4
	s_addc_u32 s3, s3, .str.19@rel32@hi+12
	s_getpc_b64 s[4:5]
	s_add_u32 s4, s4, __PRETTY_FUNCTION__._ZN7VecsMemIjLi8192EE6shrinkEi@rel32@lo+4
	s_addc_u32 s5, s5, __PRETTY_FUNCTION__._ZN7VecsMemIjLi8192EE6shrinkEi@rel32@hi+12
	v_dual_mov_b32 v0, s0 :: v_dual_mov_b32 v1, s1
	v_dual_mov_b32 v2, s2 :: v_dual_mov_b32 v3, s3
	v_dual_mov_b32 v4, 20 :: v_dual_mov_b32 v5, s4
	s_waitcnt vmcnt(0)
	v_mov_b32_e32 v6, s5
	s_getpc_b64 s[6:7]
	s_add_u32 s6, s6, __assert_fail@rel32@lo+4
	s_addc_u32 s7, s7, __assert_fail@rel32@hi+12
	s_delay_alu instid0(SALU_CYCLE_1) | instskip(SKIP_3) | instid1(SALU_CYCLE_1)
	s_swappc_b64 s[30:31], s[6:7]
	s_or_b32 s17, s17, exec_lo
	s_or_b32 exec_lo, exec_lo, s24
	s_and_saveexec_b32 s0, s22
	s_xor_b32 s22, exec_lo, s0
	s_cbranch_execz .LBB7_356
.LBB7_778:
	v_readlane_b32 s0, v123, 0
	v_readlane_b32 s1, v123, 1
	s_delay_alu instid0(VALU_DEP_2) | instskip(NEXT) | instid1(VALU_DEP_1)
	s_add_u32 s8, s0, 0x80
	s_addc_u32 s9, s1, 0
	s_getpc_b64 s[0:1]
	s_add_u32 s0, s0, .str.18@rel32@lo+4
	s_addc_u32 s1, s1, .str.18@rel32@hi+12
	s_getpc_b64 s[2:3]
	s_add_u32 s2, s2, .str.19@rel32@lo+4
	s_addc_u32 s3, s3, .str.19@rel32@hi+12
	s_getpc_b64 s[4:5]
	s_add_u32 s4, s4, __PRETTY_FUNCTION__._ZN7VecsMemIjLi8192EE6shrinkEi@rel32@lo+4
	s_addc_u32 s5, s5, __PRETTY_FUNCTION__._ZN7VecsMemIjLi8192EE6shrinkEi@rel32@hi+12
	v_dual_mov_b32 v0, s0 :: v_dual_mov_b32 v1, s1
	v_dual_mov_b32 v2, s2 :: v_dual_mov_b32 v3, s3
	;; [unrolled: 1-line block ×3, first 2 shown]
	s_waitcnt vmcnt(0)
	v_mov_b32_e32 v6, s5
	s_getpc_b64 s[6:7]
	s_add_u32 s6, s6, __assert_fail@rel32@lo+4
	s_addc_u32 s7, s7, __assert_fail@rel32@hi+12
	s_delay_alu instid0(SALU_CYCLE_1) | instskip(SKIP_3) | instid1(SALU_CYCLE_1)
	s_swappc_b64 s[30:31], s[6:7]
	s_or_b32 s17, s17, exec_lo
	s_or_b32 exec_lo, exec_lo, s22
	s_and_saveexec_b32 s0, s21
	s_xor_b32 s21, exec_lo, s0
	s_cbranch_execz .LBB7_357
.LBB7_779:
	v_readlane_b32 s0, v123, 0
	v_readlane_b32 s1, v123, 1
	s_delay_alu instid0(VALU_DEP_2) | instskip(NEXT) | instid1(VALU_DEP_1)
	s_add_u32 s8, s0, 0x80
	s_addc_u32 s9, s1, 0
	s_getpc_b64 s[0:1]
	s_add_u32 s0, s0, .str.17@rel32@lo+4
	s_addc_u32 s1, s1, .str.17@rel32@hi+12
	s_getpc_b64 s[2:3]
	s_add_u32 s2, s2, .str.16@rel32@lo+4
	s_addc_u32 s3, s3, .str.16@rel32@hi+12
	s_getpc_b64 s[4:5]
	s_add_u32 s4, s4, __PRETTY_FUNCTION__._ZN3sop10minatoIsopEPKjiP7VecsMemIjLi8192EE@rel32@lo+4
	s_addc_u32 s5, s5, __PRETTY_FUNCTION__._ZN3sop10minatoIsopEPKjiP7VecsMemIjLi8192EE@rel32@hi+12
	v_dual_mov_b32 v0, s0 :: v_dual_mov_b32 v1, s1
	v_dual_mov_b32 v2, s2 :: v_dual_mov_b32 v3, s3
	;; [unrolled: 1-line block ×3, first 2 shown]
	s_waitcnt vmcnt(0)
	v_mov_b32_e32 v6, s5
	s_getpc_b64 s[6:7]
	s_add_u32 s6, s6, __assert_fail@rel32@lo+4
	s_addc_u32 s7, s7, __assert_fail@rel32@hi+12
	s_delay_alu instid0(SALU_CYCLE_1)
	s_swappc_b64 s[30:31], s[6:7]
	s_or_b32 s17, s17, exec_lo
	s_or_b32 exec_lo, exec_lo, s21
	s_and_saveexec_b32 s21, s20
	s_cbranch_execz .LBB7_358
.LBB7_780:
	v_readlane_b32 s0, v123, 2
	v_readlane_b32 s1, v123, 3
	v_mbcnt_lo_u32_b32 v29, -1, 0
	s_waitcnt vmcnt(0)
	v_mov_b32_e32 v6, 0
	v_mov_b32_e32 v7, 0
	s_load_b64 s[2:3], s[0:1], 0x50
	v_readfirstlane_b32 s0, v29
	s_delay_alu instid0(VALU_DEP_1) | instskip(NEXT) | instid1(VALU_DEP_1)
	v_cmp_eq_u32_e64 s0, s0, v29
	s_and_saveexec_b32 s1, s0
	s_cbranch_execz .LBB7_786
; %bb.781:
	v_mov_b32_e32 v0, 0
	s_mov_b32 s4, exec_lo
	s_waitcnt lgkmcnt(0)
	global_load_b64 v[3:4], v0, s[2:3] offset:24 glc
	s_waitcnt vmcnt(0)
	buffer_gl1_inv
	buffer_gl0_inv
	s_clause 0x1
	global_load_b64 v[1:2], v0, s[2:3] offset:40
	global_load_b64 v[5:6], v0, s[2:3]
	s_waitcnt vmcnt(1)
	v_and_b32_e32 v1, v1, v3
	v_and_b32_e32 v2, v2, v4
	s_delay_alu instid0(VALU_DEP_2) | instskip(NEXT) | instid1(VALU_DEP_2)
	v_mul_hi_u32 v7, v1, 24
	v_mul_lo_u32 v2, v2, 24
	v_mul_lo_u32 v1, v1, 24
	s_delay_alu instid0(VALU_DEP_2) | instskip(SKIP_1) | instid1(VALU_DEP_2)
	v_add_nc_u32_e32 v2, v7, v2
	s_waitcnt vmcnt(0)
	v_add_co_u32 v1, vcc_lo, v5, v1
	s_delay_alu instid0(VALU_DEP_2)
	v_add_co_ci_u32_e32 v2, vcc_lo, v6, v2, vcc_lo
	global_load_b64 v[1:2], v[1:2], off glc
	s_waitcnt vmcnt(0)
	global_atomic_cmpswap_b64 v[6:7], v0, v[1:4], s[2:3] offset:24 glc
	s_waitcnt vmcnt(0)
	buffer_gl1_inv
	buffer_gl0_inv
	v_cmpx_ne_u64_e64 v[6:7], v[3:4]
	s_cbranch_execz .LBB7_785
; %bb.782:
	s_mov_b32 s5, 0
	.p2align	6
.LBB7_783:                              ; =>This Inner Loop Header: Depth=1
	s_sleep 1
	s_clause 0x1
	global_load_b64 v[1:2], v0, s[2:3] offset:40
	global_load_b64 v[8:9], v0, s[2:3]
	v_dual_mov_b32 v3, v6 :: v_dual_mov_b32 v4, v7
	s_waitcnt vmcnt(1)
	s_delay_alu instid0(VALU_DEP_1) | instskip(NEXT) | instid1(VALU_DEP_2)
	v_and_b32_e32 v1, v1, v3
	v_and_b32_e32 v2, v2, v4
	s_waitcnt vmcnt(0)
	s_delay_alu instid0(VALU_DEP_2) | instskip(NEXT) | instid1(VALU_DEP_1)
	v_mad_u64_u32 v[5:6], null, v1, 24, v[8:9]
	v_mov_b32_e32 v1, v6
	s_delay_alu instid0(VALU_DEP_1)
	v_mad_u64_u32 v[6:7], null, v2, 24, v[1:2]
	global_load_b64 v[1:2], v[5:6], off glc
	s_waitcnt vmcnt(0)
	global_atomic_cmpswap_b64 v[6:7], v0, v[1:4], s[2:3] offset:24 glc
	s_waitcnt vmcnt(0)
	buffer_gl1_inv
	buffer_gl0_inv
	v_cmp_eq_u64_e32 vcc_lo, v[6:7], v[3:4]
	s_or_b32 s5, vcc_lo, s5
	s_delay_alu instid0(SALU_CYCLE_1)
	s_and_not1_b32 exec_lo, exec_lo, s5
	s_cbranch_execnz .LBB7_783
; %bb.784:
	s_or_b32 exec_lo, exec_lo, s5
.LBB7_785:
	s_delay_alu instid0(SALU_CYCLE_1)
	s_or_b32 exec_lo, exec_lo, s4
.LBB7_786:
	s_delay_alu instid0(SALU_CYCLE_1)
	s_or_b32 exec_lo, exec_lo, s1
	v_mov_b32_e32 v5, 0
	v_readfirstlane_b32 s4, v6
	v_readfirstlane_b32 s5, v7
	s_mov_b32 s1, exec_lo
	s_waitcnt lgkmcnt(0)
	s_clause 0x1
	global_load_b64 v[8:9], v5, s[2:3] offset:40
	global_load_b128 v[0:3], v5, s[2:3]
	s_waitcnt vmcnt(1)
	v_readfirstlane_b32 s6, v8
	v_readfirstlane_b32 s7, v9
	s_delay_alu instid0(VALU_DEP_1) | instskip(NEXT) | instid1(SALU_CYCLE_1)
	s_and_b64 s[6:7], s[4:5], s[6:7]
	s_mul_i32 s8, s7, 24
	s_mul_hi_u32 s9, s6, 24
	s_mul_i32 s10, s6, 24
	s_add_i32 s9, s9, s8
	s_waitcnt vmcnt(0)
	v_add_co_u32 v8, vcc_lo, v0, s10
	v_add_co_ci_u32_e32 v9, vcc_lo, s9, v1, vcc_lo
	s_and_saveexec_b32 s8, s0
	s_cbranch_execz .LBB7_788
; %bb.787:
	v_dual_mov_b32 v4, s1 :: v_dual_mov_b32 v7, 1
	v_mov_b32_e32 v6, 2
	global_store_b128 v[8:9], v[4:7], off offset:8
.LBB7_788:
	s_or_b32 exec_lo, exec_lo, s8
	s_lshl_b64 s[6:7], s[6:7], 12
	v_dual_mov_b32 v7, v5 :: v_dual_lshlrev_b32 v28, 6, v29
	v_add_co_u32 v2, vcc_lo, v2, s6
	v_add_co_ci_u32_e32 v3, vcc_lo, s7, v3, vcc_lo
	s_mov_b32 s8, 0
	s_delay_alu instid0(VALU_DEP_2)
	v_add_co_u32 v10, vcc_lo, v2, v28
	s_mov_b32 s11, s8
	s_mov_b32 s9, s8
	;; [unrolled: 1-line block ×3, first 2 shown]
	v_dual_mov_b32 v4, 33 :: v_dual_mov_b32 v15, s11
	v_dual_mov_b32 v6, v5 :: v_dual_mov_b32 v13, s9
	v_readfirstlane_b32 s6, v2
	v_readfirstlane_b32 s7, v3
	v_add_co_ci_u32_e32 v11, vcc_lo, 0, v3, vcc_lo
	v_mov_b32_e32 v14, s10
	v_mov_b32_e32 v12, s8
	s_clause 0x3
	global_store_b128 v28, v[4:7], s[6:7]
	global_store_b128 v28, v[12:15], s[6:7] offset:16
	global_store_b128 v28, v[12:15], s[6:7] offset:32
	;; [unrolled: 1-line block ×3, first 2 shown]
	s_and_saveexec_b32 s1, s0
	s_cbranch_execz .LBB7_796
; %bb.789:
	v_mov_b32_e32 v6, 0
	s_mov_b32 s6, exec_lo
	s_clause 0x1
	global_load_b64 v[14:15], v6, s[2:3] offset:32 glc
	global_load_b64 v[2:3], v6, s[2:3] offset:40
	v_dual_mov_b32 v13, s5 :: v_dual_mov_b32 v12, s4
	s_waitcnt vmcnt(0)
	v_and_b32_e32 v3, s5, v3
	v_and_b32_e32 v2, s4, v2
	s_delay_alu instid0(VALU_DEP_2) | instskip(NEXT) | instid1(VALU_DEP_2)
	v_mul_lo_u32 v3, v3, 24
	v_mul_hi_u32 v4, v2, 24
	v_mul_lo_u32 v2, v2, 24
	s_delay_alu instid0(VALU_DEP_2) | instskip(NEXT) | instid1(VALU_DEP_2)
	v_add_nc_u32_e32 v3, v4, v3
	v_add_co_u32 v4, vcc_lo, v0, v2
	s_delay_alu instid0(VALU_DEP_2)
	v_add_co_ci_u32_e32 v5, vcc_lo, v1, v3, vcc_lo
	global_store_b64 v[4:5], v[14:15], off
	s_waitcnt_vscnt null, 0x0
	global_atomic_cmpswap_b64 v[2:3], v6, v[12:15], s[2:3] offset:32 glc
	s_waitcnt vmcnt(0)
	v_cmpx_ne_u64_e64 v[2:3], v[14:15]
	s_cbranch_execz .LBB7_792
; %bb.790:
	s_mov_b32 s7, 0
.LBB7_791:                              ; =>This Inner Loop Header: Depth=1
	v_dual_mov_b32 v0, s4 :: v_dual_mov_b32 v1, s5
	s_sleep 1
	global_store_b64 v[4:5], v[2:3], off
	s_waitcnt_vscnt null, 0x0
	global_atomic_cmpswap_b64 v[0:1], v6, v[0:3], s[2:3] offset:32 glc
	s_waitcnt vmcnt(0)
	v_cmp_eq_u64_e32 vcc_lo, v[0:1], v[2:3]
	v_dual_mov_b32 v3, v1 :: v_dual_mov_b32 v2, v0
	s_or_b32 s7, vcc_lo, s7
	s_delay_alu instid0(SALU_CYCLE_1)
	s_and_not1_b32 exec_lo, exec_lo, s7
	s_cbranch_execnz .LBB7_791
.LBB7_792:
	s_or_b32 exec_lo, exec_lo, s6
	v_mov_b32_e32 v3, 0
	s_mov_b32 s7, exec_lo
	s_mov_b32 s6, exec_lo
	v_mbcnt_lo_u32_b32 v2, s7, 0
	global_load_b64 v[0:1], v3, s[2:3] offset:16
	v_cmpx_eq_u32_e32 0, v2
	s_cbranch_execz .LBB7_794
; %bb.793:
	s_bcnt1_i32_b32 s7, s7
	s_delay_alu instid0(SALU_CYCLE_1)
	v_mov_b32_e32 v2, s7
	s_waitcnt vmcnt(0)
	global_atomic_add_u64 v[0:1], v[2:3], off offset:8
.LBB7_794:
	s_or_b32 exec_lo, exec_lo, s6
	s_waitcnt vmcnt(0)
	global_load_b64 v[2:3], v[0:1], off offset:16
	s_waitcnt vmcnt(0)
	v_cmp_eq_u64_e32 vcc_lo, 0, v[2:3]
	s_cbranch_vccnz .LBB7_796
; %bb.795:
	global_load_b32 v0, v[0:1], off offset:24
	s_waitcnt vmcnt(0)
	v_dual_mov_b32 v1, 0 :: v_dual_and_b32 v4, 0xffffff, v0
	s_waitcnt_vscnt null, 0x0
	global_store_b64 v[2:3], v[0:1], off
	v_readfirstlane_b32 m0, v4
	s_sendmsg sendmsg(MSG_INTERRUPT)
.LBB7_796:
	s_or_b32 exec_lo, exec_lo, s1
	s_branch .LBB7_800
	.p2align	6
.LBB7_797:                              ;   in Loop: Header=BB7_800 Depth=1
	s_or_b32 exec_lo, exec_lo, s1
	s_delay_alu instid0(VALU_DEP_1) | instskip(NEXT) | instid1(VALU_DEP_1)
	v_readfirstlane_b32 s1, v0
	s_cmp_eq_u32 s1, 0
	s_cbranch_scc1 .LBB7_799
; %bb.798:                              ;   in Loop: Header=BB7_800 Depth=1
	s_sleep 1
	s_cbranch_execnz .LBB7_800
	s_branch .LBB7_802
	.p2align	6
.LBB7_799:
	s_branch .LBB7_802
.LBB7_800:                              ; =>This Inner Loop Header: Depth=1
	v_mov_b32_e32 v0, 1
	s_and_saveexec_b32 s1, s0
	s_cbranch_execz .LBB7_797
; %bb.801:                              ;   in Loop: Header=BB7_800 Depth=1
	global_load_b32 v0, v[8:9], off offset:20 glc
	s_waitcnt vmcnt(0)
	buffer_gl1_inv
	buffer_gl0_inv
	v_and_b32_e32 v0, 1, v0
	s_branch .LBB7_797
.LBB7_802:
	global_load_b64 v[0:1], v[10:11], off
	s_and_saveexec_b32 s1, s0
	s_cbranch_execz .LBB7_806
; %bb.803:
	v_mov_b32_e32 v8, 0
	s_clause 0x2
	global_load_b64 v[4:5], v8, s[2:3] offset:40
	global_load_b64 v[9:10], v8, s[2:3] offset:24 glc
	global_load_b64 v[6:7], v8, s[2:3]
	s_waitcnt vmcnt(2)
	v_add_co_u32 v11, vcc_lo, v4, 1
	v_add_co_ci_u32_e32 v12, vcc_lo, 0, v5, vcc_lo
	s_delay_alu instid0(VALU_DEP_2) | instskip(NEXT) | instid1(VALU_DEP_2)
	v_add_co_u32 v2, vcc_lo, v11, s4
	v_add_co_ci_u32_e32 v3, vcc_lo, s5, v12, vcc_lo
	s_delay_alu instid0(VALU_DEP_1) | instskip(SKIP_1) | instid1(VALU_DEP_1)
	v_cmp_eq_u64_e32 vcc_lo, 0, v[2:3]
	v_dual_cndmask_b32 v3, v3, v12 :: v_dual_cndmask_b32 v2, v2, v11
	v_and_b32_e32 v5, v3, v5
	s_delay_alu instid0(VALU_DEP_2) | instskip(NEXT) | instid1(VALU_DEP_2)
	v_and_b32_e32 v4, v2, v4
	v_mul_lo_u32 v5, v5, 24
	s_delay_alu instid0(VALU_DEP_2) | instskip(SKIP_1) | instid1(VALU_DEP_2)
	v_mul_hi_u32 v11, v4, 24
	v_mul_lo_u32 v4, v4, 24
	v_add_nc_u32_e32 v5, v11, v5
	s_waitcnt vmcnt(0)
	s_delay_alu instid0(VALU_DEP_2) | instskip(SKIP_1) | instid1(VALU_DEP_3)
	v_add_co_u32 v6, vcc_lo, v6, v4
	v_mov_b32_e32 v4, v9
	v_add_co_ci_u32_e32 v7, vcc_lo, v7, v5, vcc_lo
	v_mov_b32_e32 v5, v10
	global_store_b64 v[6:7], v[9:10], off
	s_waitcnt_vscnt null, 0x0
	global_atomic_cmpswap_b64 v[4:5], v8, v[2:5], s[2:3] offset:24 glc
	s_waitcnt vmcnt(0)
	v_cmp_ne_u64_e32 vcc_lo, v[4:5], v[9:10]
	s_and_b32 exec_lo, exec_lo, vcc_lo
	s_cbranch_execz .LBB7_806
; %bb.804:
	s_mov_b32 s0, 0
.LBB7_805:                              ; =>This Inner Loop Header: Depth=1
	s_sleep 1
	global_store_b64 v[6:7], v[4:5], off
	s_waitcnt_vscnt null, 0x0
	global_atomic_cmpswap_b64 v[9:10], v8, v[2:5], s[2:3] offset:24 glc
	s_waitcnt vmcnt(0)
	v_cmp_eq_u64_e32 vcc_lo, v[9:10], v[4:5]
	v_dual_mov_b32 v4, v9 :: v_dual_mov_b32 v5, v10
	s_or_b32 s0, vcc_lo, s0
	s_delay_alu instid0(SALU_CYCLE_1)
	s_and_not1_b32 exec_lo, exec_lo, s0
	s_cbranch_execnz .LBB7_805
.LBB7_806:
	s_or_b32 exec_lo, exec_lo, s1
	s_getpc_b64 s[4:5]
	s_add_u32 s4, s4, .str.28@rel32@lo+4
	s_addc_u32 s5, s5, .str.28@rel32@hi+12
	s_delay_alu instid0(SALU_CYCLE_1)
	s_cmp_lg_u64 s[4:5], 0
	s_cbranch_scc0 .LBB7_885
; %bb.807:
	s_waitcnt vmcnt(0)
	v_dual_mov_b32 v7, v1 :: v_dual_and_b32 v6, -3, v0
	v_dual_mov_b32 v3, 0 :: v_dual_mov_b32 v4, 2
	v_mov_b32_e32 v5, 1
	s_mov_b64 s[6:7], 35
	s_branch .LBB7_809
.LBB7_808:                              ;   in Loop: Header=BB7_809 Depth=1
	s_or_b32 exec_lo, exec_lo, s1
	s_sub_u32 s6, s6, s8
	s_subb_u32 s7, s7, s9
	s_add_u32 s4, s4, s8
	s_addc_u32 s5, s5, s9
	s_cmp_lg_u64 s[6:7], 0
	s_cbranch_scc0 .LBB7_884
.LBB7_809:                              ; =>This Loop Header: Depth=1
                                        ;     Child Loop BB7_818 Depth 2
                                        ;     Child Loop BB7_814 Depth 2
	;; [unrolled: 1-line block ×11, first 2 shown]
	v_cmp_lt_u64_e64 s0, s[6:7], 56
	v_cmp_gt_u64_e64 s1, s[6:7], 7
                                        ; implicit-def: $sgpr14
	s_delay_alu instid0(VALU_DEP_2) | instskip(SKIP_2) | instid1(VALU_DEP_1)
	s_and_b32 s0, s0, exec_lo
	s_cselect_b32 s9, s7, 0
	s_cselect_b32 s8, s6, 56
	s_and_b32 vcc_lo, exec_lo, s1
	s_mov_b32 s0, -1
	s_cbranch_vccz .LBB7_816
; %bb.810:                              ;   in Loop: Header=BB7_809 Depth=1
	s_and_not1_b32 vcc_lo, exec_lo, s0
	s_mov_b64 s[0:1], s[4:5]
	s_cbranch_vccz .LBB7_820
.LBB7_811:                              ;   in Loop: Header=BB7_809 Depth=1
	s_cmp_gt_u32 s14, 7
	s_cbranch_scc1 .LBB7_821
.LBB7_812:                              ;   in Loop: Header=BB7_809 Depth=1
	v_mov_b32_e32 v10, 0
	v_mov_b32_e32 v11, 0
	s_cmp_eq_u32 s14, 0
	s_cbranch_scc1 .LBB7_815
; %bb.813:                              ;   in Loop: Header=BB7_809 Depth=1
	s_mov_b64 s[10:11], 0
	s_mov_b64 s[12:13], 0
.LBB7_814:                              ;   Parent Loop BB7_809 Depth=1
                                        ; =>  This Inner Loop Header: Depth=2
	s_delay_alu instid0(SALU_CYCLE_1)
	s_add_u32 s22, s0, s12
	s_addc_u32 s23, s1, s13
	s_add_u32 s12, s12, 1
	global_load_u8 v2, v3, s[22:23]
	s_addc_u32 s13, s13, 0
	s_waitcnt vmcnt(0)
	v_and_b32_e32 v2, 0xffff, v2
	s_delay_alu instid0(VALU_DEP_1) | instskip(SKIP_3) | instid1(VALU_DEP_1)
	v_lshlrev_b64 v[12:13], s10, v[2:3]
	s_add_u32 s10, s10, 8
	s_addc_u32 s11, s11, 0
	s_cmp_lg_u32 s14, s12
	v_or_b32_e32 v10, v12, v10
	s_delay_alu instid0(VALU_DEP_2)
	v_or_b32_e32 v11, v13, v11
	s_cbranch_scc1 .LBB7_814
.LBB7_815:                              ;   in Loop: Header=BB7_809 Depth=1
	s_mov_b32 s15, 0
	s_cbranch_execz .LBB7_822
	s_branch .LBB7_823
.LBB7_816:                              ;   in Loop: Header=BB7_809 Depth=1
	s_waitcnt vmcnt(0)
	v_mov_b32_e32 v8, 0
	v_mov_b32_e32 v9, 0
	s_cmp_eq_u64 s[6:7], 0
	s_mov_b64 s[0:1], 0
	s_cbranch_scc1 .LBB7_819
; %bb.817:                              ;   in Loop: Header=BB7_809 Depth=1
	v_mov_b32_e32 v8, 0
	v_mov_b32_e32 v9, 0
	s_lshl_b64 s[10:11], s[8:9], 3
	s_mov_b64 s[12:13], s[4:5]
.LBB7_818:                              ;   Parent Loop BB7_809 Depth=1
                                        ; =>  This Inner Loop Header: Depth=2
	global_load_u8 v2, v3, s[12:13]
	s_waitcnt vmcnt(0)
	v_and_b32_e32 v2, 0xffff, v2
	s_delay_alu instid0(VALU_DEP_1)
	v_lshlrev_b64 v[10:11], s0, v[2:3]
	s_add_u32 s0, s0, 8
	s_addc_u32 s1, s1, 0
	s_add_u32 s12, s12, 1
	s_addc_u32 s13, s13, 0
	s_cmp_lg_u32 s10, s0
	v_or_b32_e32 v8, v10, v8
	v_or_b32_e32 v9, v11, v9
	s_cbranch_scc1 .LBB7_818
.LBB7_819:                              ;   in Loop: Header=BB7_809 Depth=1
	s_mov_b32 s14, 0
	s_mov_b64 s[0:1], s[4:5]
	s_cbranch_execnz .LBB7_811
.LBB7_820:                              ;   in Loop: Header=BB7_809 Depth=1
	global_load_b64 v[8:9], v3, s[4:5]
	s_add_i32 s14, s8, -8
	s_add_u32 s0, s4, 8
	s_addc_u32 s1, s5, 0
	s_cmp_gt_u32 s14, 7
	s_cbranch_scc0 .LBB7_812
.LBB7_821:                              ;   in Loop: Header=BB7_809 Depth=1
                                        ; implicit-def: $vgpr10_vgpr11
                                        ; implicit-def: $sgpr15
.LBB7_822:                              ;   in Loop: Header=BB7_809 Depth=1
	global_load_b64 v[10:11], v3, s[0:1]
	s_add_i32 s15, s14, -8
	s_add_u32 s0, s0, 8
	s_addc_u32 s1, s1, 0
.LBB7_823:                              ;   in Loop: Header=BB7_809 Depth=1
	s_cmp_gt_u32 s15, 7
	s_cbranch_scc1 .LBB7_828
; %bb.824:                              ;   in Loop: Header=BB7_809 Depth=1
	v_mov_b32_e32 v12, 0
	v_mov_b32_e32 v13, 0
	s_cmp_eq_u32 s15, 0
	s_cbranch_scc1 .LBB7_827
; %bb.825:                              ;   in Loop: Header=BB7_809 Depth=1
	s_mov_b64 s[10:11], 0
	s_mov_b64 s[12:13], 0
.LBB7_826:                              ;   Parent Loop BB7_809 Depth=1
                                        ; =>  This Inner Loop Header: Depth=2
	s_delay_alu instid0(SALU_CYCLE_1)
	s_add_u32 s22, s0, s12
	s_addc_u32 s23, s1, s13
	s_add_u32 s12, s12, 1
	global_load_u8 v2, v3, s[22:23]
	s_addc_u32 s13, s13, 0
	s_waitcnt vmcnt(0)
	v_and_b32_e32 v2, 0xffff, v2
	s_delay_alu instid0(VALU_DEP_1) | instskip(SKIP_3) | instid1(VALU_DEP_1)
	v_lshlrev_b64 v[14:15], s10, v[2:3]
	s_add_u32 s10, s10, 8
	s_addc_u32 s11, s11, 0
	s_cmp_lg_u32 s15, s12
	v_or_b32_e32 v12, v14, v12
	s_delay_alu instid0(VALU_DEP_2)
	v_or_b32_e32 v13, v15, v13
	s_cbranch_scc1 .LBB7_826
.LBB7_827:                              ;   in Loop: Header=BB7_809 Depth=1
	s_mov_b32 s14, 0
	s_cbranch_execz .LBB7_829
	s_branch .LBB7_830
.LBB7_828:                              ;   in Loop: Header=BB7_809 Depth=1
                                        ; implicit-def: $sgpr14
.LBB7_829:                              ;   in Loop: Header=BB7_809 Depth=1
	global_load_b64 v[12:13], v3, s[0:1]
	s_add_i32 s14, s15, -8
	s_add_u32 s0, s0, 8
	s_addc_u32 s1, s1, 0
.LBB7_830:                              ;   in Loop: Header=BB7_809 Depth=1
	s_cmp_gt_u32 s14, 7
	s_cbranch_scc1 .LBB7_835
; %bb.831:                              ;   in Loop: Header=BB7_809 Depth=1
	v_mov_b32_e32 v14, 0
	v_mov_b32_e32 v15, 0
	s_cmp_eq_u32 s14, 0
	s_cbranch_scc1 .LBB7_834
; %bb.832:                              ;   in Loop: Header=BB7_809 Depth=1
	s_mov_b64 s[10:11], 0
	s_mov_b64 s[12:13], 0
.LBB7_833:                              ;   Parent Loop BB7_809 Depth=1
                                        ; =>  This Inner Loop Header: Depth=2
	s_delay_alu instid0(SALU_CYCLE_1)
	s_add_u32 s22, s0, s12
	s_addc_u32 s23, s1, s13
	s_add_u32 s12, s12, 1
	global_load_u8 v2, v3, s[22:23]
	s_addc_u32 s13, s13, 0
	s_waitcnt vmcnt(0)
	v_and_b32_e32 v2, 0xffff, v2
	s_delay_alu instid0(VALU_DEP_1) | instskip(SKIP_3) | instid1(VALU_DEP_1)
	v_lshlrev_b64 v[16:17], s10, v[2:3]
	s_add_u32 s10, s10, 8
	s_addc_u32 s11, s11, 0
	s_cmp_lg_u32 s14, s12
	v_or_b32_e32 v14, v16, v14
	s_delay_alu instid0(VALU_DEP_2)
	v_or_b32_e32 v15, v17, v15
	s_cbranch_scc1 .LBB7_833
.LBB7_834:                              ;   in Loop: Header=BB7_809 Depth=1
	s_mov_b32 s15, 0
	s_cbranch_execz .LBB7_836
	s_branch .LBB7_837
.LBB7_835:                              ;   in Loop: Header=BB7_809 Depth=1
                                        ; implicit-def: $vgpr14_vgpr15
                                        ; implicit-def: $sgpr15
.LBB7_836:                              ;   in Loop: Header=BB7_809 Depth=1
	global_load_b64 v[14:15], v3, s[0:1]
	s_add_i32 s15, s14, -8
	s_add_u32 s0, s0, 8
	s_addc_u32 s1, s1, 0
.LBB7_837:                              ;   in Loop: Header=BB7_809 Depth=1
	s_cmp_gt_u32 s15, 7
	s_cbranch_scc1 .LBB7_842
; %bb.838:                              ;   in Loop: Header=BB7_809 Depth=1
	v_mov_b32_e32 v16, 0
	v_mov_b32_e32 v17, 0
	s_cmp_eq_u32 s15, 0
	s_cbranch_scc1 .LBB7_841
; %bb.839:                              ;   in Loop: Header=BB7_809 Depth=1
	s_mov_b64 s[10:11], 0
	s_mov_b64 s[12:13], 0
.LBB7_840:                              ;   Parent Loop BB7_809 Depth=1
                                        ; =>  This Inner Loop Header: Depth=2
	s_delay_alu instid0(SALU_CYCLE_1)
	s_add_u32 s22, s0, s12
	s_addc_u32 s23, s1, s13
	s_add_u32 s12, s12, 1
	global_load_u8 v2, v3, s[22:23]
	s_addc_u32 s13, s13, 0
	s_waitcnt vmcnt(0)
	v_and_b32_e32 v2, 0xffff, v2
	s_delay_alu instid0(VALU_DEP_1) | instskip(SKIP_3) | instid1(VALU_DEP_1)
	v_lshlrev_b64 v[18:19], s10, v[2:3]
	s_add_u32 s10, s10, 8
	s_addc_u32 s11, s11, 0
	s_cmp_lg_u32 s15, s12
	v_or_b32_e32 v16, v18, v16
	s_delay_alu instid0(VALU_DEP_2)
	v_or_b32_e32 v17, v19, v17
	s_cbranch_scc1 .LBB7_840
.LBB7_841:                              ;   in Loop: Header=BB7_809 Depth=1
	s_mov_b32 s14, 0
	s_cbranch_execz .LBB7_843
	s_branch .LBB7_844
.LBB7_842:                              ;   in Loop: Header=BB7_809 Depth=1
                                        ; implicit-def: $sgpr14
.LBB7_843:                              ;   in Loop: Header=BB7_809 Depth=1
	global_load_b64 v[16:17], v3, s[0:1]
	s_add_i32 s14, s15, -8
	s_add_u32 s0, s0, 8
	s_addc_u32 s1, s1, 0
.LBB7_844:                              ;   in Loop: Header=BB7_809 Depth=1
	s_cmp_gt_u32 s14, 7
	s_cbranch_scc1 .LBB7_849
; %bb.845:                              ;   in Loop: Header=BB7_809 Depth=1
	v_mov_b32_e32 v18, 0
	v_mov_b32_e32 v19, 0
	s_cmp_eq_u32 s14, 0
	s_cbranch_scc1 .LBB7_848
; %bb.846:                              ;   in Loop: Header=BB7_809 Depth=1
	s_mov_b64 s[10:11], 0
	s_mov_b64 s[12:13], 0
.LBB7_847:                              ;   Parent Loop BB7_809 Depth=1
                                        ; =>  This Inner Loop Header: Depth=2
	s_delay_alu instid0(SALU_CYCLE_1)
	s_add_u32 s22, s0, s12
	s_addc_u32 s23, s1, s13
	s_add_u32 s12, s12, 1
	global_load_u8 v2, v3, s[22:23]
	s_addc_u32 s13, s13, 0
	s_waitcnt vmcnt(0)
	v_and_b32_e32 v2, 0xffff, v2
	s_delay_alu instid0(VALU_DEP_1) | instskip(SKIP_3) | instid1(VALU_DEP_1)
	v_lshlrev_b64 v[20:21], s10, v[2:3]
	s_add_u32 s10, s10, 8
	s_addc_u32 s11, s11, 0
	s_cmp_lg_u32 s14, s12
	v_or_b32_e32 v18, v20, v18
	s_delay_alu instid0(VALU_DEP_2)
	v_or_b32_e32 v19, v21, v19
	s_cbranch_scc1 .LBB7_847
.LBB7_848:                              ;   in Loop: Header=BB7_809 Depth=1
	s_mov_b32 s15, 0
	s_cbranch_execz .LBB7_850
	s_branch .LBB7_851
.LBB7_849:                              ;   in Loop: Header=BB7_809 Depth=1
                                        ; implicit-def: $vgpr18_vgpr19
                                        ; implicit-def: $sgpr15
.LBB7_850:                              ;   in Loop: Header=BB7_809 Depth=1
	global_load_b64 v[18:19], v3, s[0:1]
	s_add_i32 s15, s14, -8
	s_add_u32 s0, s0, 8
	s_addc_u32 s1, s1, 0
.LBB7_851:                              ;   in Loop: Header=BB7_809 Depth=1
	s_cmp_gt_u32 s15, 7
	s_cbranch_scc1 .LBB7_856
; %bb.852:                              ;   in Loop: Header=BB7_809 Depth=1
	v_mov_b32_e32 v20, 0
	v_mov_b32_e32 v21, 0
	s_cmp_eq_u32 s15, 0
	s_cbranch_scc1 .LBB7_855
; %bb.853:                              ;   in Loop: Header=BB7_809 Depth=1
	s_mov_b64 s[10:11], 0
	s_mov_b64 s[12:13], s[0:1]
.LBB7_854:                              ;   Parent Loop BB7_809 Depth=1
                                        ; =>  This Inner Loop Header: Depth=2
	global_load_u8 v2, v3, s[12:13]
	s_add_i32 s15, s15, -1
	s_waitcnt vmcnt(0)
	v_and_b32_e32 v2, 0xffff, v2
	s_delay_alu instid0(VALU_DEP_1)
	v_lshlrev_b64 v[22:23], s10, v[2:3]
	s_add_u32 s10, s10, 8
	s_addc_u32 s11, s11, 0
	s_add_u32 s12, s12, 1
	s_addc_u32 s13, s13, 0
	s_cmp_lg_u32 s15, 0
	v_or_b32_e32 v20, v22, v20
	v_or_b32_e32 v21, v23, v21
	s_cbranch_scc1 .LBB7_854
.LBB7_855:                              ;   in Loop: Header=BB7_809 Depth=1
	s_cbranch_execz .LBB7_857
	s_branch .LBB7_858
.LBB7_856:                              ;   in Loop: Header=BB7_809 Depth=1
.LBB7_857:                              ;   in Loop: Header=BB7_809 Depth=1
	global_load_b64 v[20:21], v3, s[0:1]
.LBB7_858:                              ;   in Loop: Header=BB7_809 Depth=1
	v_readfirstlane_b32 s0, v29
	v_mov_b32_e32 v26, 0
	v_mov_b32_e32 v27, 0
	s_delay_alu instid0(VALU_DEP_3) | instskip(NEXT) | instid1(VALU_DEP_1)
	v_cmp_eq_u32_e64 s0, s0, v29
	s_and_saveexec_b32 s1, s0
	s_cbranch_execz .LBB7_864
; %bb.859:                              ;   in Loop: Header=BB7_809 Depth=1
	global_load_b64 v[24:25], v3, s[2:3] offset:24 glc
	s_waitcnt vmcnt(0)
	buffer_gl1_inv
	buffer_gl0_inv
	s_clause 0x1
	global_load_b64 v[22:23], v3, s[2:3] offset:40
	global_load_b64 v[26:27], v3, s[2:3]
	s_mov_b32 s10, exec_lo
	s_waitcnt vmcnt(1)
	v_and_b32_e32 v2, v23, v25
	v_and_b32_e32 v22, v22, v24
	s_delay_alu instid0(VALU_DEP_2) | instskip(NEXT) | instid1(VALU_DEP_2)
	v_mul_lo_u32 v2, v2, 24
	v_mul_hi_u32 v23, v22, 24
	v_mul_lo_u32 v22, v22, 24
	s_delay_alu instid0(VALU_DEP_2) | instskip(SKIP_1) | instid1(VALU_DEP_2)
	v_add_nc_u32_e32 v2, v23, v2
	s_waitcnt vmcnt(0)
	v_add_co_u32 v22, vcc_lo, v26, v22
	s_delay_alu instid0(VALU_DEP_2)
	v_add_co_ci_u32_e32 v23, vcc_lo, v27, v2, vcc_lo
	global_load_b64 v[22:23], v[22:23], off glc
	s_waitcnt vmcnt(0)
	global_atomic_cmpswap_b64 v[26:27], v3, v[22:25], s[2:3] offset:24 glc
	s_waitcnt vmcnt(0)
	buffer_gl1_inv
	buffer_gl0_inv
	v_cmpx_ne_u64_e64 v[26:27], v[24:25]
	s_cbranch_execz .LBB7_863
; %bb.860:                              ;   in Loop: Header=BB7_809 Depth=1
	s_mov_b32 s11, 0
	.p2align	6
.LBB7_861:                              ;   Parent Loop BB7_809 Depth=1
                                        ; =>  This Inner Loop Header: Depth=2
	s_sleep 1
	s_clause 0x1
	global_load_b64 v[22:23], v3, s[2:3] offset:40
	global_load_b64 v[30:31], v3, s[2:3]
	v_dual_mov_b32 v24, v26 :: v_dual_mov_b32 v25, v27
	s_waitcnt vmcnt(1)
	s_delay_alu instid0(VALU_DEP_1) | instskip(SKIP_1) | instid1(VALU_DEP_1)
	v_and_b32_e32 v2, v22, v24
	s_waitcnt vmcnt(0)
	v_mad_u64_u32 v[26:27], null, v2, 24, v[30:31]
	v_and_b32_e32 v30, v23, v25
	s_delay_alu instid0(VALU_DEP_2) | instskip(NEXT) | instid1(VALU_DEP_1)
	v_mov_b32_e32 v2, v27
	v_mad_u64_u32 v[22:23], null, v30, 24, v[2:3]
	s_delay_alu instid0(VALU_DEP_1)
	v_mov_b32_e32 v27, v22
	global_load_b64 v[22:23], v[26:27], off glc
	s_waitcnt vmcnt(0)
	global_atomic_cmpswap_b64 v[26:27], v3, v[22:25], s[2:3] offset:24 glc
	s_waitcnt vmcnt(0)
	buffer_gl1_inv
	buffer_gl0_inv
	v_cmp_eq_u64_e32 vcc_lo, v[26:27], v[24:25]
	s_or_b32 s11, vcc_lo, s11
	s_delay_alu instid0(SALU_CYCLE_1)
	s_and_not1_b32 exec_lo, exec_lo, s11
	s_cbranch_execnz .LBB7_861
; %bb.862:                              ;   in Loop: Header=BB7_809 Depth=1
	s_or_b32 exec_lo, exec_lo, s11
.LBB7_863:                              ;   in Loop: Header=BB7_809 Depth=1
	s_delay_alu instid0(SALU_CYCLE_1)
	s_or_b32 exec_lo, exec_lo, s10
.LBB7_864:                              ;   in Loop: Header=BB7_809 Depth=1
	s_delay_alu instid0(SALU_CYCLE_1)
	s_or_b32 exec_lo, exec_lo, s1
	s_clause 0x1
	global_load_b64 v[30:31], v3, s[2:3] offset:40
	global_load_b128 v[22:25], v3, s[2:3]
	v_readfirstlane_b32 s10, v26
	v_readfirstlane_b32 s11, v27
	s_mov_b32 s1, exec_lo
	s_waitcnt vmcnt(1)
	v_readfirstlane_b32 s12, v30
	v_readfirstlane_b32 s13, v31
	s_delay_alu instid0(VALU_DEP_1) | instskip(NEXT) | instid1(SALU_CYCLE_1)
	s_and_b64 s[12:13], s[10:11], s[12:13]
	s_mul_i32 s14, s13, 24
	s_mul_hi_u32 s15, s12, 24
	s_mul_i32 s16, s12, 24
	s_add_i32 s15, s15, s14
	s_waitcnt vmcnt(0)
	v_add_co_u32 v26, vcc_lo, v22, s16
	v_add_co_ci_u32_e32 v27, vcc_lo, s15, v23, vcc_lo
	s_and_saveexec_b32 s14, s0
	s_cbranch_execz .LBB7_866
; %bb.865:                              ;   in Loop: Header=BB7_809 Depth=1
	v_mov_b32_e32 v2, s1
	global_store_b128 v[26:27], v[2:5], off offset:8
.LBB7_866:                              ;   in Loop: Header=BB7_809 Depth=1
	s_or_b32 exec_lo, exec_lo, s14
	s_lshl_b64 s[12:13], s[12:13], 12
	v_or_b32_e32 v2, 2, v6
	v_add_co_u32 v24, vcc_lo, v24, s12
	v_add_co_ci_u32_e32 v25, vcc_lo, s13, v25, vcc_lo
	v_cmp_gt_u64_e64 vcc_lo, s[6:7], 56
	s_lshl_b32 s1, s8, 2
	s_delay_alu instid0(VALU_DEP_3) | instskip(SKIP_4) | instid1(VALU_DEP_1)
	v_readfirstlane_b32 s12, v24
	s_add_i32 s1, s1, 28
	v_readfirstlane_b32 s13, v25
	s_and_b32 s1, s1, 0x1e0
	v_cndmask_b32_e32 v2, v2, v6, vcc_lo
	v_and_or_b32 v6, 0xffffff1f, v2, s1
	s_clause 0x3
	global_store_b128 v28, v[6:9], s[12:13]
	global_store_b128 v28, v[10:13], s[12:13] offset:16
	global_store_b128 v28, v[14:17], s[12:13] offset:32
	;; [unrolled: 1-line block ×3, first 2 shown]
	s_and_saveexec_b32 s1, s0
	s_cbranch_execz .LBB7_874
; %bb.867:                              ;   in Loop: Header=BB7_809 Depth=1
	s_clause 0x1
	global_load_b64 v[14:15], v3, s[2:3] offset:32 glc
	global_load_b64 v[6:7], v3, s[2:3] offset:40
	v_dual_mov_b32 v12, s10 :: v_dual_mov_b32 v13, s11
	s_waitcnt vmcnt(0)
	v_readfirstlane_b32 s12, v6
	v_readfirstlane_b32 s13, v7
	s_delay_alu instid0(VALU_DEP_1) | instskip(NEXT) | instid1(SALU_CYCLE_1)
	s_and_b64 s[12:13], s[12:13], s[10:11]
	s_mul_i32 s13, s13, 24
	s_mul_hi_u32 s14, s12, 24
	s_mul_i32 s12, s12, 24
	s_add_i32 s14, s14, s13
	v_add_co_u32 v10, vcc_lo, v22, s12
	v_add_co_ci_u32_e32 v11, vcc_lo, s14, v23, vcc_lo
	s_mov_b32 s12, exec_lo
	global_store_b64 v[10:11], v[14:15], off
	s_waitcnt_vscnt null, 0x0
	global_atomic_cmpswap_b64 v[8:9], v3, v[12:15], s[2:3] offset:32 glc
	s_waitcnt vmcnt(0)
	v_cmpx_ne_u64_e64 v[8:9], v[14:15]
	s_cbranch_execz .LBB7_870
; %bb.868:                              ;   in Loop: Header=BB7_809 Depth=1
	s_mov_b32 s13, 0
.LBB7_869:                              ;   Parent Loop BB7_809 Depth=1
                                        ; =>  This Inner Loop Header: Depth=2
	v_dual_mov_b32 v6, s10 :: v_dual_mov_b32 v7, s11
	s_sleep 1
	global_store_b64 v[10:11], v[8:9], off
	s_waitcnt_vscnt null, 0x0
	global_atomic_cmpswap_b64 v[6:7], v3, v[6:9], s[2:3] offset:32 glc
	s_waitcnt vmcnt(0)
	v_cmp_eq_u64_e32 vcc_lo, v[6:7], v[8:9]
	v_dual_mov_b32 v9, v7 :: v_dual_mov_b32 v8, v6
	s_or_b32 s13, vcc_lo, s13
	s_delay_alu instid0(SALU_CYCLE_1)
	s_and_not1_b32 exec_lo, exec_lo, s13
	s_cbranch_execnz .LBB7_869
.LBB7_870:                              ;   in Loop: Header=BB7_809 Depth=1
	s_or_b32 exec_lo, exec_lo, s12
	global_load_b64 v[6:7], v3, s[2:3] offset:16
	s_mov_b32 s13, exec_lo
	s_mov_b32 s12, exec_lo
	v_mbcnt_lo_u32_b32 v2, s13, 0
	s_delay_alu instid0(VALU_DEP_1)
	v_cmpx_eq_u32_e32 0, v2
	s_cbranch_execz .LBB7_872
; %bb.871:                              ;   in Loop: Header=BB7_809 Depth=1
	s_bcnt1_i32_b32 s13, s13
	s_delay_alu instid0(SALU_CYCLE_1)
	v_mov_b32_e32 v2, s13
	s_waitcnt vmcnt(0)
	global_atomic_add_u64 v[6:7], v[2:3], off offset:8
.LBB7_872:                              ;   in Loop: Header=BB7_809 Depth=1
	s_or_b32 exec_lo, exec_lo, s12
	s_waitcnt vmcnt(0)
	global_load_b64 v[8:9], v[6:7], off offset:16
	s_waitcnt vmcnt(0)
	v_cmp_eq_u64_e32 vcc_lo, 0, v[8:9]
	s_cbranch_vccnz .LBB7_874
; %bb.873:                              ;   in Loop: Header=BB7_809 Depth=1
	global_load_b32 v2, v[6:7], off offset:24
	s_waitcnt vmcnt(0)
	v_and_b32_e32 v6, 0xffffff, v2
	s_waitcnt_vscnt null, 0x0
	global_store_b64 v[8:9], v[2:3], off
	v_readfirstlane_b32 m0, v6
	s_sendmsg sendmsg(MSG_INTERRUPT)
.LBB7_874:                              ;   in Loop: Header=BB7_809 Depth=1
	s_or_b32 exec_lo, exec_lo, s1
	v_add_co_u32 v6, vcc_lo, v24, v28
	v_add_co_ci_u32_e32 v7, vcc_lo, 0, v25, vcc_lo
	s_branch .LBB7_878
	.p2align	6
.LBB7_875:                              ;   in Loop: Header=BB7_878 Depth=2
	s_or_b32 exec_lo, exec_lo, s1
	s_delay_alu instid0(VALU_DEP_1) | instskip(NEXT) | instid1(VALU_DEP_1)
	v_readfirstlane_b32 s1, v2
	s_cmp_eq_u32 s1, 0
	s_cbranch_scc1 .LBB7_877
; %bb.876:                              ;   in Loop: Header=BB7_878 Depth=2
	s_sleep 1
	s_cbranch_execnz .LBB7_878
	s_branch .LBB7_880
	.p2align	6
.LBB7_877:                              ;   in Loop: Header=BB7_809 Depth=1
	s_branch .LBB7_880
.LBB7_878:                              ;   Parent Loop BB7_809 Depth=1
                                        ; =>  This Inner Loop Header: Depth=2
	v_mov_b32_e32 v2, 1
	s_and_saveexec_b32 s1, s0
	s_cbranch_execz .LBB7_875
; %bb.879:                              ;   in Loop: Header=BB7_878 Depth=2
	global_load_b32 v2, v[26:27], off offset:20 glc
	s_waitcnt vmcnt(0)
	buffer_gl1_inv
	buffer_gl0_inv
	v_and_b32_e32 v2, 1, v2
	s_branch .LBB7_875
.LBB7_880:                              ;   in Loop: Header=BB7_809 Depth=1
	global_load_b128 v[6:9], v[6:7], off
	s_and_saveexec_b32 s1, s0
	s_cbranch_execz .LBB7_808
; %bb.881:                              ;   in Loop: Header=BB7_809 Depth=1
	s_clause 0x2
	global_load_b64 v[10:11], v3, s[2:3] offset:40
	global_load_b64 v[14:15], v3, s[2:3] offset:24 glc
	global_load_b64 v[12:13], v3, s[2:3]
	s_waitcnt vmcnt(2)
	v_add_co_u32 v2, vcc_lo, v10, 1
	v_add_co_ci_u32_e32 v16, vcc_lo, 0, v11, vcc_lo
	s_delay_alu instid0(VALU_DEP_2) | instskip(NEXT) | instid1(VALU_DEP_2)
	v_add_co_u32 v8, vcc_lo, v2, s10
	v_add_co_ci_u32_e32 v9, vcc_lo, s11, v16, vcc_lo
	s_delay_alu instid0(VALU_DEP_1) | instskip(SKIP_1) | instid1(VALU_DEP_1)
	v_cmp_eq_u64_e32 vcc_lo, 0, v[8:9]
	v_dual_cndmask_b32 v9, v9, v16 :: v_dual_cndmask_b32 v8, v8, v2
	v_and_b32_e32 v2, v9, v11
	s_delay_alu instid0(VALU_DEP_2) | instskip(NEXT) | instid1(VALU_DEP_2)
	v_and_b32_e32 v10, v8, v10
	v_mul_lo_u32 v2, v2, 24
	s_delay_alu instid0(VALU_DEP_2) | instskip(SKIP_1) | instid1(VALU_DEP_2)
	v_mul_hi_u32 v11, v10, 24
	v_mul_lo_u32 v10, v10, 24
	v_add_nc_u32_e32 v2, v11, v2
	s_waitcnt vmcnt(1)
	v_mov_b32_e32 v11, v15
	s_waitcnt vmcnt(0)
	s_delay_alu instid0(VALU_DEP_3)
	v_add_co_u32 v12, vcc_lo, v12, v10
	v_mov_b32_e32 v10, v14
	v_add_co_ci_u32_e32 v13, vcc_lo, v13, v2, vcc_lo
	global_store_b64 v[12:13], v[14:15], off
	s_waitcnt_vscnt null, 0x0
	global_atomic_cmpswap_b64 v[10:11], v3, v[8:11], s[2:3] offset:24 glc
	s_waitcnt vmcnt(0)
	v_cmp_ne_u64_e32 vcc_lo, v[10:11], v[14:15]
	s_and_b32 exec_lo, exec_lo, vcc_lo
	s_cbranch_execz .LBB7_808
; %bb.882:                              ;   in Loop: Header=BB7_809 Depth=1
	s_mov_b32 s0, 0
.LBB7_883:                              ;   Parent Loop BB7_809 Depth=1
                                        ; =>  This Inner Loop Header: Depth=2
	s_sleep 1
	global_store_b64 v[12:13], v[10:11], off
	s_waitcnt_vscnt null, 0x0
	global_atomic_cmpswap_b64 v[14:15], v3, v[8:11], s[2:3] offset:24 glc
	s_waitcnt vmcnt(0)
	v_cmp_eq_u64_e32 vcc_lo, v[14:15], v[10:11]
	v_dual_mov_b32 v10, v14 :: v_dual_mov_b32 v11, v15
	s_or_b32 s0, vcc_lo, s0
	s_delay_alu instid0(SALU_CYCLE_1)
	s_and_not1_b32 exec_lo, exec_lo, s0
	s_cbranch_execnz .LBB7_883
	s_branch .LBB7_808
.LBB7_884:
	s_branch .LBB7_913
.LBB7_885:
	s_cbranch_execz .LBB7_913
; %bb.886:
	v_readfirstlane_b32 s0, v29
	s_waitcnt vmcnt(0)
	v_mov_b32_e32 v8, 0
	v_mov_b32_e32 v9, 0
	s_delay_alu instid0(VALU_DEP_3) | instskip(NEXT) | instid1(VALU_DEP_1)
	v_cmp_eq_u32_e64 s0, s0, v29
	s_and_saveexec_b32 s1, s0
	s_cbranch_execz .LBB7_892
; %bb.887:
	v_mov_b32_e32 v2, 0
	s_mov_b32 s4, exec_lo
	global_load_b64 v[5:6], v2, s[2:3] offset:24 glc
	s_waitcnt vmcnt(0)
	buffer_gl1_inv
	buffer_gl0_inv
	s_clause 0x1
	global_load_b64 v[3:4], v2, s[2:3] offset:40
	global_load_b64 v[7:8], v2, s[2:3]
	s_waitcnt vmcnt(1)
	v_and_b32_e32 v3, v3, v5
	v_and_b32_e32 v4, v4, v6
	s_delay_alu instid0(VALU_DEP_2) | instskip(NEXT) | instid1(VALU_DEP_2)
	v_mul_hi_u32 v9, v3, 24
	v_mul_lo_u32 v4, v4, 24
	v_mul_lo_u32 v3, v3, 24
	s_delay_alu instid0(VALU_DEP_2) | instskip(SKIP_1) | instid1(VALU_DEP_2)
	v_add_nc_u32_e32 v4, v9, v4
	s_waitcnt vmcnt(0)
	v_add_co_u32 v3, vcc_lo, v7, v3
	s_delay_alu instid0(VALU_DEP_2)
	v_add_co_ci_u32_e32 v4, vcc_lo, v8, v4, vcc_lo
	global_load_b64 v[3:4], v[3:4], off glc
	s_waitcnt vmcnt(0)
	global_atomic_cmpswap_b64 v[8:9], v2, v[3:6], s[2:3] offset:24 glc
	s_waitcnt vmcnt(0)
	buffer_gl1_inv
	buffer_gl0_inv
	v_cmpx_ne_u64_e64 v[8:9], v[5:6]
	s_cbranch_execz .LBB7_891
; %bb.888:
	s_mov_b32 s5, 0
	.p2align	6
.LBB7_889:                              ; =>This Inner Loop Header: Depth=1
	s_sleep 1
	s_clause 0x1
	global_load_b64 v[3:4], v2, s[2:3] offset:40
	global_load_b64 v[10:11], v2, s[2:3]
	v_dual_mov_b32 v5, v8 :: v_dual_mov_b32 v6, v9
	s_waitcnt vmcnt(1)
	s_delay_alu instid0(VALU_DEP_1) | instskip(NEXT) | instid1(VALU_DEP_2)
	v_and_b32_e32 v3, v3, v5
	v_and_b32_e32 v4, v4, v6
	s_waitcnt vmcnt(0)
	s_delay_alu instid0(VALU_DEP_2) | instskip(NEXT) | instid1(VALU_DEP_1)
	v_mad_u64_u32 v[7:8], null, v3, 24, v[10:11]
	v_mov_b32_e32 v3, v8
	s_delay_alu instid0(VALU_DEP_1)
	v_mad_u64_u32 v[8:9], null, v4, 24, v[3:4]
	global_load_b64 v[3:4], v[7:8], off glc
	s_waitcnt vmcnt(0)
	global_atomic_cmpswap_b64 v[8:9], v2, v[3:6], s[2:3] offset:24 glc
	s_waitcnt vmcnt(0)
	buffer_gl1_inv
	buffer_gl0_inv
	v_cmp_eq_u64_e32 vcc_lo, v[8:9], v[5:6]
	s_or_b32 s5, vcc_lo, s5
	s_delay_alu instid0(SALU_CYCLE_1)
	s_and_not1_b32 exec_lo, exec_lo, s5
	s_cbranch_execnz .LBB7_889
; %bb.890:
	s_or_b32 exec_lo, exec_lo, s5
.LBB7_891:
	s_delay_alu instid0(SALU_CYCLE_1)
	s_or_b32 exec_lo, exec_lo, s4
.LBB7_892:
	s_delay_alu instid0(SALU_CYCLE_1)
	s_or_b32 exec_lo, exec_lo, s1
	v_mov_b32_e32 v2, 0
	v_readfirstlane_b32 s4, v8
	v_readfirstlane_b32 s5, v9
	s_mov_b32 s1, exec_lo
	s_clause 0x1
	global_load_b64 v[10:11], v2, s[2:3] offset:40
	global_load_b128 v[4:7], v2, s[2:3]
	s_waitcnt vmcnt(1)
	v_readfirstlane_b32 s6, v10
	v_readfirstlane_b32 s7, v11
	s_delay_alu instid0(VALU_DEP_1) | instskip(NEXT) | instid1(SALU_CYCLE_1)
	s_and_b64 s[6:7], s[4:5], s[6:7]
	s_mul_i32 s8, s7, 24
	s_mul_hi_u32 s9, s6, 24
	s_mul_i32 s10, s6, 24
	s_add_i32 s9, s9, s8
	s_waitcnt vmcnt(0)
	v_add_co_u32 v8, vcc_lo, v4, s10
	v_add_co_ci_u32_e32 v9, vcc_lo, s9, v5, vcc_lo
	s_and_saveexec_b32 s8, s0
	s_cbranch_execz .LBB7_894
; %bb.893:
	v_dual_mov_b32 v10, s1 :: v_dual_mov_b32 v11, v2
	v_dual_mov_b32 v12, 2 :: v_dual_mov_b32 v13, 1
	global_store_b128 v[8:9], v[10:13], off offset:8
.LBB7_894:
	s_or_b32 exec_lo, exec_lo, s8
	s_lshl_b64 s[6:7], s[6:7], 12
	s_mov_b32 s8, 0
	v_add_co_u32 v6, vcc_lo, v6, s6
	v_add_co_ci_u32_e32 v7, vcc_lo, s7, v7, vcc_lo
	s_mov_b32 s11, s8
	s_mov_b32 s9, s8
	;; [unrolled: 1-line block ×3, first 2 shown]
	v_and_or_b32 v0, 0xffffff1d, v0, 34
	v_mov_b32_e32 v3, v2
	v_readfirstlane_b32 s6, v6
	v_readfirstlane_b32 s7, v7
	v_dual_mov_b32 v13, s11 :: v_dual_mov_b32 v10, s8
	v_dual_mov_b32 v12, s10 :: v_dual_mov_b32 v11, s9
	s_clause 0x3
	global_store_b128 v28, v[0:3], s[6:7]
	global_store_b128 v28, v[10:13], s[6:7] offset:16
	global_store_b128 v28, v[10:13], s[6:7] offset:32
	;; [unrolled: 1-line block ×3, first 2 shown]
	s_and_saveexec_b32 s1, s0
	s_cbranch_execz .LBB7_902
; %bb.895:
	v_dual_mov_b32 v6, 0 :: v_dual_mov_b32 v11, s5
	v_mov_b32_e32 v10, s4
	s_clause 0x1
	global_load_b64 v[12:13], v6, s[2:3] offset:32 glc
	global_load_b64 v[0:1], v6, s[2:3] offset:40
	s_waitcnt vmcnt(0)
	v_readfirstlane_b32 s6, v0
	v_readfirstlane_b32 s7, v1
	s_delay_alu instid0(VALU_DEP_1) | instskip(NEXT) | instid1(SALU_CYCLE_1)
	s_and_b64 s[6:7], s[6:7], s[4:5]
	s_mul_i32 s7, s7, 24
	s_mul_hi_u32 s8, s6, 24
	s_mul_i32 s6, s6, 24
	s_add_i32 s8, s8, s7
	v_add_co_u32 v4, vcc_lo, v4, s6
	v_add_co_ci_u32_e32 v5, vcc_lo, s8, v5, vcc_lo
	s_mov_b32 s6, exec_lo
	global_store_b64 v[4:5], v[12:13], off
	s_waitcnt_vscnt null, 0x0
	global_atomic_cmpswap_b64 v[2:3], v6, v[10:13], s[2:3] offset:32 glc
	s_waitcnt vmcnt(0)
	v_cmpx_ne_u64_e64 v[2:3], v[12:13]
	s_cbranch_execz .LBB7_898
; %bb.896:
	s_mov_b32 s7, 0
.LBB7_897:                              ; =>This Inner Loop Header: Depth=1
	v_dual_mov_b32 v0, s4 :: v_dual_mov_b32 v1, s5
	s_sleep 1
	global_store_b64 v[4:5], v[2:3], off
	s_waitcnt_vscnt null, 0x0
	global_atomic_cmpswap_b64 v[0:1], v6, v[0:3], s[2:3] offset:32 glc
	s_waitcnt vmcnt(0)
	v_cmp_eq_u64_e32 vcc_lo, v[0:1], v[2:3]
	v_dual_mov_b32 v3, v1 :: v_dual_mov_b32 v2, v0
	s_or_b32 s7, vcc_lo, s7
	s_delay_alu instid0(SALU_CYCLE_1)
	s_and_not1_b32 exec_lo, exec_lo, s7
	s_cbranch_execnz .LBB7_897
.LBB7_898:
	s_or_b32 exec_lo, exec_lo, s6
	v_mov_b32_e32 v3, 0
	s_mov_b32 s7, exec_lo
	s_mov_b32 s6, exec_lo
	v_mbcnt_lo_u32_b32 v2, s7, 0
	global_load_b64 v[0:1], v3, s[2:3] offset:16
	v_cmpx_eq_u32_e32 0, v2
	s_cbranch_execz .LBB7_900
; %bb.899:
	s_bcnt1_i32_b32 s7, s7
	s_delay_alu instid0(SALU_CYCLE_1)
	v_mov_b32_e32 v2, s7
	s_waitcnt vmcnt(0)
	global_atomic_add_u64 v[0:1], v[2:3], off offset:8
.LBB7_900:
	s_or_b32 exec_lo, exec_lo, s6
	s_waitcnt vmcnt(0)
	global_load_b64 v[2:3], v[0:1], off offset:16
	s_waitcnt vmcnt(0)
	v_cmp_eq_u64_e32 vcc_lo, 0, v[2:3]
	s_cbranch_vccnz .LBB7_902
; %bb.901:
	global_load_b32 v0, v[0:1], off offset:24
	s_waitcnt vmcnt(0)
	v_dual_mov_b32 v1, 0 :: v_dual_and_b32 v4, 0xffffff, v0
	s_waitcnt_vscnt null, 0x0
	global_store_b64 v[2:3], v[0:1], off
	v_readfirstlane_b32 m0, v4
	s_sendmsg sendmsg(MSG_INTERRUPT)
.LBB7_902:
	s_or_b32 exec_lo, exec_lo, s1
	s_branch .LBB7_906
	.p2align	6
.LBB7_903:                              ;   in Loop: Header=BB7_906 Depth=1
	s_or_b32 exec_lo, exec_lo, s1
	s_delay_alu instid0(VALU_DEP_1) | instskip(NEXT) | instid1(VALU_DEP_1)
	v_readfirstlane_b32 s1, v0
	s_cmp_eq_u32 s1, 0
	s_cbranch_scc1 .LBB7_905
; %bb.904:                              ;   in Loop: Header=BB7_906 Depth=1
	s_sleep 1
	s_cbranch_execnz .LBB7_906
	s_branch .LBB7_908
	.p2align	6
.LBB7_905:
	s_branch .LBB7_908
.LBB7_906:                              ; =>This Inner Loop Header: Depth=1
	v_mov_b32_e32 v0, 1
	s_and_saveexec_b32 s1, s0
	s_cbranch_execz .LBB7_903
; %bb.907:                              ;   in Loop: Header=BB7_906 Depth=1
	global_load_b32 v0, v[8:9], off offset:20 glc
	s_waitcnt vmcnt(0)
	buffer_gl1_inv
	buffer_gl0_inv
	v_and_b32_e32 v0, 1, v0
	s_branch .LBB7_903
.LBB7_908:
	s_and_saveexec_b32 s1, s0
	s_cbranch_execz .LBB7_912
; %bb.909:
	v_mov_b32_e32 v6, 0
	s_clause 0x2
	global_load_b64 v[2:3], v6, s[2:3] offset:40
	global_load_b64 v[7:8], v6, s[2:3] offset:24 glc
	global_load_b64 v[4:5], v6, s[2:3]
	s_waitcnt vmcnt(2)
	v_add_co_u32 v9, vcc_lo, v2, 1
	v_add_co_ci_u32_e32 v10, vcc_lo, 0, v3, vcc_lo
	s_delay_alu instid0(VALU_DEP_2) | instskip(NEXT) | instid1(VALU_DEP_2)
	v_add_co_u32 v0, vcc_lo, v9, s4
	v_add_co_ci_u32_e32 v1, vcc_lo, s5, v10, vcc_lo
	s_delay_alu instid0(VALU_DEP_1) | instskip(SKIP_1) | instid1(VALU_DEP_1)
	v_cmp_eq_u64_e32 vcc_lo, 0, v[0:1]
	v_dual_cndmask_b32 v1, v1, v10 :: v_dual_cndmask_b32 v0, v0, v9
	v_and_b32_e32 v3, v1, v3
	s_delay_alu instid0(VALU_DEP_2) | instskip(NEXT) | instid1(VALU_DEP_2)
	v_and_b32_e32 v2, v0, v2
	v_mul_lo_u32 v3, v3, 24
	s_delay_alu instid0(VALU_DEP_2) | instskip(SKIP_1) | instid1(VALU_DEP_2)
	v_mul_hi_u32 v9, v2, 24
	v_mul_lo_u32 v2, v2, 24
	v_add_nc_u32_e32 v3, v9, v3
	s_waitcnt vmcnt(0)
	s_delay_alu instid0(VALU_DEP_2) | instskip(SKIP_1) | instid1(VALU_DEP_3)
	v_add_co_u32 v4, vcc_lo, v4, v2
	v_mov_b32_e32 v2, v7
	v_add_co_ci_u32_e32 v5, vcc_lo, v5, v3, vcc_lo
	v_mov_b32_e32 v3, v8
	global_store_b64 v[4:5], v[7:8], off
	s_waitcnt_vscnt null, 0x0
	global_atomic_cmpswap_b64 v[2:3], v6, v[0:3], s[2:3] offset:24 glc
	s_waitcnt vmcnt(0)
	v_cmp_ne_u64_e32 vcc_lo, v[2:3], v[7:8]
	s_and_b32 exec_lo, exec_lo, vcc_lo
	s_cbranch_execz .LBB7_912
; %bb.910:
	s_mov_b32 s0, 0
.LBB7_911:                              ; =>This Inner Loop Header: Depth=1
	s_sleep 1
	global_store_b64 v[4:5], v[2:3], off
	s_waitcnt_vscnt null, 0x0
	global_atomic_cmpswap_b64 v[7:8], v6, v[0:3], s[2:3] offset:24 glc
	s_waitcnt vmcnt(0)
	v_cmp_eq_u64_e32 vcc_lo, v[7:8], v[2:3]
	v_dual_mov_b32 v2, v7 :: v_dual_mov_b32 v3, v8
	s_or_b32 s0, vcc_lo, s0
	s_delay_alu instid0(SALU_CYCLE_1)
	s_and_not1_b32 exec_lo, exec_lo, s0
	s_cbranch_execnz .LBB7_911
.LBB7_912:
	s_or_b32 exec_lo, exec_lo, s1
.LBB7_913:
	v_readlane_b32 s0, v123, 0
	v_readlane_b32 s1, v123, 1
	s_delay_alu instid0(VALU_DEP_2) | instskip(NEXT) | instid1(VALU_DEP_1)
	s_add_u32 s8, s0, 0x80
	s_addc_u32 s9, s1, 0
	s_getpc_b64 s[0:1]
	s_add_u32 s0, s0, .str.29@rel32@lo+4
	s_addc_u32 s1, s1, .str.29@rel32@hi+12
	s_getpc_b64 s[2:3]
	s_add_u32 s2, s2, .str.19@rel32@lo+4
	s_addc_u32 s3, s3, .str.19@rel32@hi+12
	s_getpc_b64 s[4:5]
	s_add_u32 s4, s4, __PRETTY_FUNCTION__._ZN7VecsMemIjLi8192EE5fetchEi@rel32@lo+4
	s_addc_u32 s5, s5, __PRETTY_FUNCTION__._ZN7VecsMemIjLi8192EE5fetchEi@rel32@hi+12
	s_waitcnt vmcnt(0)
	v_dual_mov_b32 v0, s0 :: v_dual_mov_b32 v1, s1
	v_dual_mov_b32 v2, s2 :: v_dual_mov_b32 v3, s3
	;; [unrolled: 1-line block ×3, first 2 shown]
	v_mov_b32_e32 v6, s5
	s_getpc_b64 s[6:7]
	s_add_u32 s6, s6, __assert_fail@rel32@lo+4
	s_addc_u32 s7, s7, __assert_fail@rel32@hi+12
	s_delay_alu instid0(SALU_CYCLE_1) | instskip(SKIP_3) | instid1(SALU_CYCLE_1)
	s_swappc_b64 s[30:31], s[6:7]
	s_or_b32 s17, s17, exec_lo
	s_or_b32 exec_lo, exec_lo, s21
	s_and_saveexec_b32 s0, s19
	s_xor_b32 s19, exec_lo, s0
	s_cbranch_execz .LBB7_359
.LBB7_914:
	v_readlane_b32 s0, v123, 0
	v_readlane_b32 s1, v123, 1
	s_delay_alu instid0(VALU_DEP_2) | instskip(NEXT) | instid1(VALU_DEP_1)
	s_add_u32 s8, s0, 0x80
	s_addc_u32 s9, s1, 0
	s_getpc_b64 s[0:1]
	s_add_u32 s0, s0, .str.18@rel32@lo+4
	s_addc_u32 s1, s1, .str.18@rel32@hi+12
	s_getpc_b64 s[2:3]
	s_add_u32 s2, s2, .str.19@rel32@lo+4
	s_addc_u32 s3, s3, .str.19@rel32@hi+12
	s_getpc_b64 s[4:5]
	s_add_u32 s4, s4, __PRETTY_FUNCTION__._ZN7VecsMemIjLi8192EE6shrinkEi@rel32@lo+4
	s_addc_u32 s5, s5, __PRETTY_FUNCTION__._ZN7VecsMemIjLi8192EE6shrinkEi@rel32@hi+12
	v_dual_mov_b32 v0, s0 :: v_dual_mov_b32 v1, s1
	v_dual_mov_b32 v2, s2 :: v_dual_mov_b32 v3, s3
	v_dual_mov_b32 v4, 20 :: v_dual_mov_b32 v5, s4
	s_waitcnt vmcnt(0)
	v_mov_b32_e32 v6, s5
	s_getpc_b64 s[6:7]
	s_add_u32 s6, s6, __assert_fail@rel32@lo+4
	s_addc_u32 s7, s7, __assert_fail@rel32@hi+12
	s_delay_alu instid0(SALU_CYCLE_1)
	s_swappc_b64 s[30:31], s[6:7]
	s_or_b32 s17, s17, exec_lo
	s_or_b32 exec_lo, exec_lo, s19
	s_and_saveexec_b32 s19, s18
	s_cbranch_execz .LBB7_360
.LBB7_915:
	v_readlane_b32 s0, v123, 0
	v_readlane_b32 s1, v123, 1
	s_delay_alu instid0(VALU_DEP_2) | instskip(NEXT) | instid1(VALU_DEP_1)
	s_add_u32 s8, s0, 0x80
	s_addc_u32 s9, s1, 0
	s_getpc_b64 s[0:1]
	s_add_u32 s0, s0, .str.7@rel32@lo+4
	s_addc_u32 s1, s1, .str.7@rel32@hi+12
	s_getpc_b64 s[2:3]
	s_add_u32 s2, s2, .str.1@rel32@lo+4
	s_addc_u32 s3, s3, .str.1@rel32@hi+12
	s_getpc_b64 s[4:5]
	s_add_u32 s4, s4, __PRETTY_FUNCTION__._Z8resynCutPKiS0_S0_S0_PKyPKjiS0_PyPiS6_S6_PjS0_S4_ii@rel32@lo+4
	s_addc_u32 s5, s5, __PRETTY_FUNCTION__._Z8resynCutPKiS0_S0_S0_PKyPKjiS0_PyPiS6_S6_PjS0_S4_ii@rel32@hi+12
	v_dual_mov_b32 v0, s0 :: v_dual_mov_b32 v1, s1
	v_dual_mov_b32 v2, s2 :: v_dual_mov_b32 v3, s3
	v_dual_mov_b32 v4, 0xa8 :: v_dual_mov_b32 v5, s4
	s_waitcnt vmcnt(0)
	v_mov_b32_e32 v6, s5
	s_getpc_b64 s[6:7]
	s_add_u32 s6, s6, __assert_fail@rel32@lo+4
	s_addc_u32 s7, s7, __assert_fail@rel32@hi+12
	s_delay_alu instid0(SALU_CYCLE_1)
	s_swappc_b64 s[30:31], s[6:7]
	s_or_b32 s17, s17, exec_lo
	s_or_b32 exec_lo, exec_lo, s19
	s_and_saveexec_b32 s0, s17
	s_cbranch_execz .LBB7_361
.LBB7_916:
	; divergent unreachable
	s_endpgm
	.section	.rodata,"a",@progbits
	.p2align	6, 0x0
	.amdhsa_kernel _Z8resynCutPKiS0_S0_S0_PKyPKjiS0_PyPiS6_S6_PjS0_S4_ii
		.amdhsa_group_segment_fixed_size 65536
		.amdhsa_private_segment_fixed_size 41344
		.amdhsa_kernarg_size 384
		.amdhsa_user_sgpr_count 15
		.amdhsa_user_sgpr_dispatch_ptr 1
		.amdhsa_user_sgpr_queue_ptr 0
		.amdhsa_user_sgpr_kernarg_segment_ptr 1
		.amdhsa_user_sgpr_dispatch_id 0
		.amdhsa_user_sgpr_private_segment_size 0
		.amdhsa_wavefront_size32 1
		.amdhsa_uses_dynamic_stack 1
		.amdhsa_enable_private_segment 1
		.amdhsa_system_sgpr_workgroup_id_x 1
		.amdhsa_system_sgpr_workgroup_id_y 0
		.amdhsa_system_sgpr_workgroup_id_z 0
		.amdhsa_system_sgpr_workgroup_info 0
		.amdhsa_system_vgpr_workitem_id 2
		.amdhsa_next_free_vgpr 124
		.amdhsa_next_free_sgpr 105
		.amdhsa_reserve_vcc 1
		.amdhsa_float_round_mode_32 0
		.amdhsa_float_round_mode_16_64 0
		.amdhsa_float_denorm_mode_32 3
		.amdhsa_float_denorm_mode_16_64 3
		.amdhsa_dx10_clamp 1
		.amdhsa_ieee_mode 1
		.amdhsa_fp16_overflow 0
		.amdhsa_workgroup_processor_mode 1
		.amdhsa_memory_ordered 1
		.amdhsa_forward_progress 0
		.amdhsa_shared_vgpr_count 0
		.amdhsa_exception_fp_ieee_invalid_op 0
		.amdhsa_exception_fp_denorm_src 0
		.amdhsa_exception_fp_ieee_div_zero 0
		.amdhsa_exception_fp_ieee_overflow 0
		.amdhsa_exception_fp_ieee_underflow 0
		.amdhsa_exception_fp_ieee_inexact 0
		.amdhsa_exception_int_div_zero 0
	.end_amdhsa_kernel
	.text
.Lfunc_end7:
	.size	_Z8resynCutPKiS0_S0_S0_PKyPKjiS0_PyPiS6_S6_PjS0_S4_ii, .Lfunc_end7-_Z8resynCutPKiS0_S0_S0_PKyPKjiS0_PyPiS6_S6_PjS0_S4_ii
                                        ; -- End function
	.section	.AMDGPU.csdata,"",@progbits
; Kernel info:
; codeLenInByte = 60548
; NumSgprs: 107
; NumVgprs: 124
; ScratchSize: 41344
; MemoryBound: 0
; FloatMode: 240
; IeeeMode: 1
; LDSByteSize: 65536 bytes/workgroup (compile time only)
; SGPRBlocks: 13
; VGPRBlocks: 15
; NumSGPRsForWavesPerEU: 107
; NumVGPRsForWavesPerEU: 124
; Occupancy: 10
; WaveLimiterHint : 1
; COMPUTE_PGM_RSRC2:SCRATCH_EN: 1
; COMPUTE_PGM_RSRC2:USER_SGPR: 15
; COMPUTE_PGM_RSRC2:TRAP_HANDLER: 0
; COMPUTE_PGM_RSRC2:TGID_X_EN: 1
; COMPUTE_PGM_RSRC2:TGID_Y_EN: 0
; COMPUTE_PGM_RSRC2:TGID_Z_EN: 0
; COMPUTE_PGM_RSRC2:TIDIG_COMP_CNT: 2
	.text
	.protected	_Z15factorFromTruthPKiS0_PyPiS2_S2_PKjS4_S0_S4_i ; -- Begin function _Z15factorFromTruthPKiS0_PyPiS2_S2_PKjS4_S0_S4_i
	.globl	_Z15factorFromTruthPKiS0_PyPiS2_S2_PKjS4_S0_S4_i
	.p2align	8
	.type	_Z15factorFromTruthPKiS0_PyPiS2_S2_PKjS4_S0_S4_i,@function
_Z15factorFromTruthPKiS0_PyPiS2_S2_PKjS4_S0_S4_i: ; @_Z15factorFromTruthPKiS0_PyPiS2_S2_PKjS4_S0_S4_i
; %bb.0:
	s_mov_b64 s[60:61], s[2:3]
	s_load_b32 s2, s[2:3], 0x64
	s_load_b32 s85, s[60:61], 0x50
	v_dual_mov_b32 v72, 0 :: v_dual_and_b32 v1, 0x3ff, v0
	s_add_u32 s80, s60, 0x58
	s_addc_u32 s81, s61, 0
	s_mov_b32 s3, -1
	s_mov_b32 s19, 0
	s_mov_b32 s18, 0
	;; [unrolled: 1-line block ×5, first 2 shown]
	scratch_store_b32 off, v72, s4
	s_waitcnt lgkmcnt(0)
	s_and_b32 s2, s2, 0xffff
	s_delay_alu instid0(SALU_CYCLE_1)
	v_mad_u64_u32 v[2:3], null, s15, s2, v[1:2]
	s_lshl_b32 s2, s85, 1
	s_delay_alu instid0(VALU_DEP_1) | instid1(SALU_CYCLE_1)
	v_cmp_gt_i32_e32 vcc_lo, s2, v2
	s_mov_b32 s2, 0
	s_and_saveexec_b32 s82, vcc_lo
	s_cbranch_execz .LBB8_406
; %bb.1:
	v_cmp_le_i32_e64 s62, s85, v2
	s_load_b512 s[64:79], s[60:61], 0x0
	v_cmp_gt_i32_e64 s63, s85, v2
	s_delay_alu instid0(VALU_DEP_2) | instskip(NEXT) | instid1(VALU_DEP_1)
	v_cndmask_b32_e64 v5, 0, s85, s62
	v_sub_nc_u32_e32 v88, v2, v5
	v_cmp_ne_u32_e32 vcc_lo, v2, v5
	s_delay_alu instid0(VALU_DEP_2) | instskip(NEXT) | instid1(VALU_DEP_1)
	v_ashrrev_i32_e32 v89, 31, v88
	v_lshlrev_b64 v[3:4], 2, v[88:89]
	s_and_saveexec_b32 s3, vcc_lo
	s_cbranch_execz .LBB8_3
; %bb.2:
	s_waitcnt lgkmcnt(0)
	s_delay_alu instid0(VALU_DEP_1) | instskip(NEXT) | instid1(VALU_DEP_1)
	v_add_co_u32 v5, s2, s66, v3
	v_add_co_ci_u32_e64 v6, s2, s67, v4, s2
	global_load_b32 v72, v[5:6], off offset:-4
.LBB8_3:
	s_or_b32 exec_lo, exec_lo, s3
	s_waitcnt lgkmcnt(0)
	s_delay_alu instid0(VALU_DEP_1) | instskip(NEXT) | instid1(VALU_DEP_1)
	v_add_co_u32 v5, s2, s66, v3
	v_add_co_ci_u32_e64 v6, s2, s67, v4, s2
	s_load_b64 s[2:3], s[60:61], 0x40
	v_mov_b32_e32 v2, 0
	global_load_b32 v45, v[5:6], off
	s_and_saveexec_b32 s4, vcc_lo
	s_cbranch_execz .LBB8_5
; %bb.4:
	s_waitcnt lgkmcnt(0)
	v_add_co_u32 v5, vcc_lo, s2, v3
	v_add_co_ci_u32_e32 v6, vcc_lo, s3, v4, vcc_lo
	global_load_b32 v2, v[5:6], off offset:-4
.LBB8_5:
	s_or_b32 exec_lo, exec_lo, s4
	s_waitcnt lgkmcnt(0)
	v_add_co_u32 v3, vcc_lo, s2, v3
	v_add_co_ci_u32_e32 v4, vcc_lo, s3, v4, vcc_lo
	s_waitcnt vmcnt(0)
	v_sub_nc_u32_e32 v41, v45, v72
	s_mov_b32 s20, 0
	s_mov_b32 s83, 0
	global_load_b32 v3, v[3:4], off
	s_mov_b32 s2, exec_lo
	v_add_nc_u32_e32 v4, -5, v41
	v_cmp_lt_i32_e32 vcc_lo, 5, v41
	s_delay_alu instid0(VALU_DEP_2) | instskip(SKIP_2) | instid1(VALU_DEP_2)
	v_lshlrev_b32_e64 v4, v4, 1
	s_waitcnt vmcnt(0)
	v_sub_nc_u32_e32 v60, v3, v2
	v_cndmask_b32_e32 v3, 1, v4, vcc_lo
	s_delay_alu instid0(VALU_DEP_1)
	v_cmpx_ne_u32_e64 v60, v3
	s_xor_b32 s17, exec_lo, s2
	s_cbranch_execz .LBB8_7
; %bb.6:
	s_add_u32 s8, s60, 0x58
	s_addc_u32 s9, s61, 0
	s_getpc_b64 s[2:3]
	s_add_u32 s2, s2, .str.12@rel32@lo+4
	s_addc_u32 s3, s3, .str.12@rel32@hi+12
	s_getpc_b64 s[4:5]
	s_add_u32 s4, s4, .str.1@rel32@lo+4
	s_addc_u32 s5, s5, .str.1@rel32@hi+12
	s_getpc_b64 s[6:7]
	s_add_u32 s6, s6, __PRETTY_FUNCTION__._Z15factorFromTruthPKiS0_PyPiS2_S2_PKjS4_S0_S4_i@rel32@lo+4
	s_addc_u32 s7, s7, __PRETTY_FUNCTION__._Z15factorFromTruthPKiS0_PyPiS2_S2_PKjS4_S0_S4_i@rel32@hi+12
	v_dual_mov_b32 v0, s2 :: v_dual_mov_b32 v1, s3
	v_dual_mov_b32 v2, s4 :: v_dual_mov_b32 v3, s5
	;; [unrolled: 1-line block ×3, first 2 shown]
	v_mov_b32_e32 v6, s7
	s_getpc_b64 s[10:11]
	s_add_u32 s10, s10, __assert_fail@rel32@lo+4
	s_addc_u32 s11, s11, __assert_fail@rel32@hi+12
	s_mov_b64 s[18:19], s[0:1]
	s_swappc_b64 s[30:31], s[10:11]
	s_mov_b64 s[0:1], s[18:19]
	s_mov_b32 s83, exec_lo
                                        ; implicit-def: $vgpr60
                                        ; implicit-def: $vgpr41
                                        ; implicit-def: $vgpr1
                                        ; implicit-def: $vgpr0
                                        ; implicit-def: $vgpr2
                                        ; implicit-def: $vgpr88_vgpr89
                                        ; implicit-def: $vgpr72
                                        ; implicit-def: $vgpr45
.LBB8_7:
	s_or_saveexec_b32 s84, s17
	s_mov_b32 s2, 0
	s_mov_b32 s3, 0
	;; [unrolled: 1-line block ×3, first 2 shown]
	s_xor_b32 exec_lo, exec_lo, s84
	s_cbranch_execz .LBB8_405
; %bb.8:
	s_load_b64 s[0:1], s[0:1], 0x4
	v_bfe_u32 v4, v0, 10, 10
	v_ashrrev_i32_e32 v3, 31, v2
	v_dual_mov_b32 v5, s78 :: v_dual_mov_b32 v6, s79
	v_bfe_u32 v0, v0, 20, 10
	s_mov_b64 s[66:67], src_private_base
	s_delay_alu instid0(VALU_DEP_3) | instskip(NEXT) | instid1(VALU_DEP_3)
	v_lshlrev_b64 v[2:3], 2, v[2:3]
	v_cndmask_b32_e64 v5, s76, v5, s62
	v_cndmask_b32_e64 v6, s77, v6, s62
	s_mov_b64 s[2:3], src_shared_base
	v_mov_b32_e32 v8, s67
	s_mov_b32 s66, 8
	v_add_co_u32 v40, vcc_lo, v5, v2
	v_add_co_ci_u32_e32 v43, vcc_lo, v6, v3, vcc_lo
	v_dual_mov_b32 v6, s3 :: v_dual_mov_b32 v7, 8
	s_waitcnt lgkmcnt(0)
	s_lshr_b32 s0, s0, 16
	v_mul_u32_u24_e32 v4, s1, v4
	s_mul_i32 s0, s0, s1
	s_add_u32 s8, s60, 0x58
	v_mul_lo_u32 v1, s0, v1
	s_addc_u32 s9, s61, 0
	s_getpc_b64 s[0:1]
	s_add_u32 s0, s0, _ZN3sop13minatoIsopRecEPKjS1_iPNS_3SopEP7VecsMemIjLi8192EE@rel32@lo+4
	s_addc_u32 s1, s1, _ZN3sop13minatoIsopRecEPKjS1_iPNS_3SopEP7VecsMemIjLi8192EE@rel32@hi+12
	v_mov_b32_e32 v3, v43
	s_delay_alu instid0(VALU_DEP_2) | instskip(SKIP_2) | instid1(VALU_DEP_3)
	v_add3_u32 v0, v1, v4, v0
	v_mov_b32_e32 v1, v43
	v_dual_mov_b32 v61, 0 :: v_dual_mov_b32 v4, v41
	v_lshlrev_b32_e32 v42, 4, v0
	v_mov_b32_e32 v0, v40
	v_mov_b32_e32 v2, v40
	scratch_store_b32 off, v61, off offset:8
	v_mov_b32_e32 v5, v42
	s_swappc_b64 s[30:31], s[0:1]
	s_mov_b32 s1, 0
                                        ; implicit-def: $sgpr0
                                        ; implicit-def: $sgpr3
                                        ; implicit-def: $sgpr2
	s_set_inst_prefetch_distance 0x1
	s_branch .LBB8_10
	.p2align	6
.LBB8_9:                                ;   in Loop: Header=BB8_10 Depth=1
	s_or_b32 exec_lo, exec_lo, s4
	s_xor_b32 s4, s2, -1
	s_and_b32 s5, exec_lo, s3
	s_delay_alu instid0(SALU_CYCLE_1) | instskip(SKIP_2) | instid1(SALU_CYCLE_1)
	s_or_b32 s1, s5, s1
	s_and_not1_b32 s0, s0, exec_lo
	s_and_b32 s4, s4, exec_lo
	s_or_b32 s0, s0, s4
	s_and_not1_b32 exec_lo, exec_lo, s1
	s_cbranch_execz .LBB8_12
.LBB8_10:                               ; =>This Inner Loop Header: Depth=1
	s_or_b32 s2, s2, exec_lo
	s_or_b32 s3, s3, exec_lo
	s_mov_b32 s4, exec_lo
	v_cmpx_lt_i32_e32 0, v60
	s_cbranch_execz .LBB8_9
; %bb.11:                               ;   in Loop: Header=BB8_10 Depth=1
	v_add_nc_u32_e32 v60, -1, v60
	s_and_not1_b32 s3, s3, exec_lo
	s_and_not1_b32 s2, s2, exec_lo
	s_delay_alu instid0(VALU_DEP_1) | instskip(NEXT) | instid1(VALU_DEP_1)
	v_lshlrev_b64 v[2:3], 2, v[60:61]
	v_add_co_u32 v4, vcc_lo, v40, v2
	s_delay_alu instid0(VALU_DEP_2)
	v_add_co_ci_u32_e32 v5, vcc_lo, v43, v3, vcc_lo
	v_add_co_u32 v2, vcc_lo, v0, v2
	v_add_co_ci_u32_e32 v3, vcc_lo, v1, v3, vcc_lo
	global_load_b32 v4, v[4:5], off
	flat_load_b32 v2, v[2:3]
	s_waitcnt vmcnt(0) lgkmcnt(0)
	v_cmp_ne_u32_e32 vcc_lo, v4, v2
	s_and_b32 s5, vcc_lo, exec_lo
	s_delay_alu instid0(SALU_CYCLE_1)
	s_or_b32 s3, s3, s5
	s_branch .LBB8_9
.LBB8_12:
	s_set_inst_prefetch_distance 0x2
	s_or_b32 exec_lo, exec_lo, s1
	s_mov_b32 s53, s83
	s_and_saveexec_b32 s1, s0
	s_delay_alu instid0(SALU_CYCLE_1)
	s_xor_b32 s17, exec_lo, s1
	s_cbranch_execz .LBB8_14
; %bb.13:
	s_add_u32 s8, s60, 0x58
	s_addc_u32 s9, s61, 0
	s_getpc_b64 s[0:1]
	s_add_u32 s0, s0, .str.15@rel32@lo+4
	s_addc_u32 s1, s1, .str.15@rel32@hi+12
	s_getpc_b64 s[2:3]
	s_add_u32 s2, s2, .str.16@rel32@lo+4
	s_addc_u32 s3, s3, .str.16@rel32@hi+12
	s_getpc_b64 s[4:5]
	s_add_u32 s4, s4, __PRETTY_FUNCTION__._ZN3sop10minatoIsopEPKjiP7VecsMemIjLi8192EE@rel32@lo+4
	s_addc_u32 s5, s5, __PRETTY_FUNCTION__._ZN3sop10minatoIsopEPKjiP7VecsMemIjLi8192EE@rel32@hi+12
	v_dual_mov_b32 v0, s0 :: v_dual_mov_b32 v1, s1
	v_dual_mov_b32 v2, s2 :: v_dual_mov_b32 v3, s3
	;; [unrolled: 1-line block ×3, first 2 shown]
	v_mov_b32_e32 v6, s5
	s_getpc_b64 s[6:7]
	s_add_u32 s6, s6, __assert_fail@rel32@lo+4
	s_addc_u32 s7, s7, __assert_fail@rel32@hi+12
	s_delay_alu instid0(SALU_CYCLE_1)
	s_swappc_b64 s[30:31], s[6:7]
	s_or_b32 s53, s83, exec_lo
                                        ; implicit-def: $vgpr88_vgpr89
                                        ; implicit-def: $vgpr41
                                        ; implicit-def: $vgpr42
                                        ; implicit-def: $vgpr72
                                        ; implicit-def: $vgpr45
.LBB8_14:
	s_or_saveexec_b32 s56, s17
	s_mov_b32 s0, 0
	s_mov_b32 s2, 0
	;; [unrolled: 1-line block ×4, first 2 shown]
	s_xor_b32 exec_lo, exec_lo, s56
	s_cbranch_execz .LBB8_404
; %bb.15:
	ds_load_b32 v46, v42 offset:4
	s_mov_b32 s1, 0
	s_mov_b32 s17, 0
	s_mov_b32 s0, exec_lo
	s_waitcnt lgkmcnt(0)
	v_cmpx_lt_i32_e32 0, v46
	s_xor_b32 s2, exec_lo, s0
	s_cbranch_execz .LBB8_19
; %bb.16:
	s_mov_b32 s0, -1
	s_mov_b32 s3, exec_lo
	v_cmpx_eq_u32_e32 1, v46
	s_cbranch_execz .LBB8_18
; %bb.17:
	ds_load_b64 v[0:1], v42 offset:8
	s_waitcnt lgkmcnt(0)
	flat_load_b32 v0, v[0:1]
	s_waitcnt vmcnt(0) lgkmcnt(0)
	v_cmp_eq_u32_e32 vcc_lo, 0, v0
	v_cmp_ne_u32_e64 s0, 0, v0
	s_and_b32 s1, vcc_lo, exec_lo
	s_delay_alu instid0(VALU_DEP_1)
	s_or_not1_b32 s0, s0, exec_lo
.LBB8_18:
	s_or_b32 exec_lo, exec_lo, s3
	s_delay_alu instid0(SALU_CYCLE_1)
	s_and_b32 s17, s1, exec_lo
	s_and_b32 s1, s0, exec_lo
.LBB8_19:
	s_and_not1_saveexec_b32 s0, s2
; %bb.20:
	v_cmp_ne_u32_e32 vcc_lo, 0, v46
	s_and_not1_b32 s1, s1, exec_lo
	s_or_b32 s17, s17, exec_lo
	s_and_b32 s2, vcc_lo, exec_lo
	s_delay_alu instid0(SALU_CYCLE_1)
	s_or_b32 s1, s1, s2
; %bb.21:
	s_or_b32 exec_lo, exec_lo, s0
	s_mov_b32 s57, 0
	s_mov_b32 s0, 0
	;; [unrolled: 1-line block ×3, first 2 shown]
	s_and_saveexec_b32 s18, s1
	s_cbranch_execz .LBB8_176
; %bb.22:
	v_mov_b32_e32 v43, 0
	v_mov_b32_e32 v44, 0
	s_mov_b32 s19, 0
	s_mov_b32 s0, -1
	s_mov_b32 s22, s53
	s_mov_b32 s20, exec_lo
	v_cmpx_lt_i32_e32 0, v46
	s_cbranch_execz .LBB8_162
; %bb.23:
	scratch_load_b32 v1, off, off offset:8
	s_mov_b32 s21, 0
	s_mov_b32 s0, exec_lo
	v_mov_b32_e32 v43, 0
	v_mov_b32_e32 v44, 0
	s_waitcnt vmcnt(0)
	v_add_nc_u32_e32 v0, v1, v46
	s_delay_alu instid0(VALU_DEP_1)
	v_cmpx_gt_i32_e32 0x2001, v0
	s_xor_b32 s0, exec_lo, s0
	s_cbranch_execz .LBB8_25
; %bb.24:
	s_mov_b64 s[2:3], src_private_base
	s_delay_alu instid0(SALU_CYCLE_1)
	v_dual_mov_b32 v44, s3 :: v_dual_lshlrev_b32 v1, 2, v1
	s_mov_b32 s21, exec_lo
	scratch_store_b32 off, v0, off offset:8
	v_add3_u32 v43, 8, v1, 4
.LBB8_25:
	s_or_saveexec_b32 s22, s0
	s_mov_b32 s0, s53
	s_xor_b32 exec_lo, exec_lo, s22
	s_cbranch_execz .LBB8_161
; %bb.26:
	s_load_b64 s[2:3], s[80:81], 0x50
	v_mbcnt_lo_u32_b32 v29, -1, 0
	v_mov_b32_e32 v6, 0
	v_mov_b32_e32 v7, 0
	s_delay_alu instid0(VALU_DEP_3) | instskip(NEXT) | instid1(VALU_DEP_1)
	v_readfirstlane_b32 s0, v29
	v_cmp_eq_u32_e64 s0, s0, v29
	s_delay_alu instid0(VALU_DEP_1)
	s_and_saveexec_b32 s1, s0
	s_cbranch_execz .LBB8_32
; %bb.27:
	v_mov_b32_e32 v0, 0
	s_mov_b32 s4, exec_lo
	s_waitcnt lgkmcnt(0)
	global_load_b64 v[3:4], v0, s[2:3] offset:24 glc
	s_waitcnt vmcnt(0)
	buffer_gl1_inv
	buffer_gl0_inv
	s_clause 0x1
	global_load_b64 v[1:2], v0, s[2:3] offset:40
	global_load_b64 v[5:6], v0, s[2:3]
	s_waitcnt vmcnt(1)
	v_and_b32_e32 v1, v1, v3
	v_and_b32_e32 v2, v2, v4
	s_delay_alu instid0(VALU_DEP_2) | instskip(NEXT) | instid1(VALU_DEP_2)
	v_mul_hi_u32 v7, v1, 24
	v_mul_lo_u32 v2, v2, 24
	v_mul_lo_u32 v1, v1, 24
	s_delay_alu instid0(VALU_DEP_2) | instskip(SKIP_1) | instid1(VALU_DEP_2)
	v_add_nc_u32_e32 v2, v7, v2
	s_waitcnt vmcnt(0)
	v_add_co_u32 v1, vcc_lo, v5, v1
	s_delay_alu instid0(VALU_DEP_2)
	v_add_co_ci_u32_e32 v2, vcc_lo, v6, v2, vcc_lo
	global_load_b64 v[1:2], v[1:2], off glc
	s_waitcnt vmcnt(0)
	global_atomic_cmpswap_b64 v[6:7], v0, v[1:4], s[2:3] offset:24 glc
	s_waitcnt vmcnt(0)
	buffer_gl1_inv
	buffer_gl0_inv
	v_cmpx_ne_u64_e64 v[6:7], v[3:4]
	s_cbranch_execz .LBB8_31
; %bb.28:
	s_mov_b32 s5, 0
.LBB8_29:                               ; =>This Inner Loop Header: Depth=1
	s_sleep 1
	s_clause 0x1
	global_load_b64 v[1:2], v0, s[2:3] offset:40
	global_load_b64 v[8:9], v0, s[2:3]
	v_dual_mov_b32 v3, v6 :: v_dual_mov_b32 v4, v7
	s_waitcnt vmcnt(1)
	s_delay_alu instid0(VALU_DEP_1) | instskip(NEXT) | instid1(VALU_DEP_2)
	v_and_b32_e32 v1, v1, v3
	v_and_b32_e32 v2, v2, v4
	s_waitcnt vmcnt(0)
	s_delay_alu instid0(VALU_DEP_2) | instskip(NEXT) | instid1(VALU_DEP_1)
	v_mad_u64_u32 v[5:6], null, v1, 24, v[8:9]
	v_mov_b32_e32 v1, v6
	s_delay_alu instid0(VALU_DEP_1)
	v_mad_u64_u32 v[6:7], null, v2, 24, v[1:2]
	global_load_b64 v[1:2], v[5:6], off glc
	s_waitcnt vmcnt(0)
	global_atomic_cmpswap_b64 v[6:7], v0, v[1:4], s[2:3] offset:24 glc
	s_waitcnt vmcnt(0)
	buffer_gl1_inv
	buffer_gl0_inv
	v_cmp_eq_u64_e32 vcc_lo, v[6:7], v[3:4]
	s_or_b32 s5, vcc_lo, s5
	s_delay_alu instid0(SALU_CYCLE_1)
	s_and_not1_b32 exec_lo, exec_lo, s5
	s_cbranch_execnz .LBB8_29
; %bb.30:
	s_or_b32 exec_lo, exec_lo, s5
.LBB8_31:
	s_delay_alu instid0(SALU_CYCLE_1)
	s_or_b32 exec_lo, exec_lo, s4
.LBB8_32:
	s_delay_alu instid0(SALU_CYCLE_1)
	s_or_b32 exec_lo, exec_lo, s1
	v_mov_b32_e32 v5, 0
	v_readfirstlane_b32 s4, v6
	v_readfirstlane_b32 s5, v7
	s_mov_b32 s1, exec_lo
	s_waitcnt lgkmcnt(0)
	s_clause 0x1
	global_load_b64 v[8:9], v5, s[2:3] offset:40
	global_load_b128 v[0:3], v5, s[2:3]
	s_waitcnt vmcnt(1)
	v_readfirstlane_b32 s6, v8
	v_readfirstlane_b32 s7, v9
	s_delay_alu instid0(VALU_DEP_1) | instskip(NEXT) | instid1(SALU_CYCLE_1)
	s_and_b64 s[6:7], s[4:5], s[6:7]
	s_mul_i32 s8, s7, 24
	s_mul_hi_u32 s9, s6, 24
	s_mul_i32 s10, s6, 24
	s_add_i32 s9, s9, s8
	s_waitcnt vmcnt(0)
	v_add_co_u32 v8, vcc_lo, v0, s10
	v_add_co_ci_u32_e32 v9, vcc_lo, s9, v1, vcc_lo
	s_and_saveexec_b32 s8, s0
	s_cbranch_execz .LBB8_34
; %bb.33:
	v_dual_mov_b32 v4, s1 :: v_dual_mov_b32 v7, 1
	v_mov_b32_e32 v6, 2
	global_store_b128 v[8:9], v[4:7], off offset:8
.LBB8_34:
	s_or_b32 exec_lo, exec_lo, s8
	s_lshl_b64 s[6:7], s[6:7], 12
	v_dual_mov_b32 v7, v5 :: v_dual_lshlrev_b32 v28, 6, v29
	v_add_co_u32 v2, vcc_lo, v2, s6
	v_add_co_ci_u32_e32 v3, vcc_lo, s7, v3, vcc_lo
	s_mov_b32 s8, 0
	s_delay_alu instid0(VALU_DEP_2)
	v_add_co_u32 v10, vcc_lo, v2, v28
	s_mov_b32 s11, s8
	s_mov_b32 s9, s8
	;; [unrolled: 1-line block ×3, first 2 shown]
	v_dual_mov_b32 v4, 33 :: v_dual_mov_b32 v15, s11
	v_dual_mov_b32 v6, v5 :: v_dual_mov_b32 v13, s9
	v_readfirstlane_b32 s6, v2
	v_readfirstlane_b32 s7, v3
	v_add_co_ci_u32_e32 v11, vcc_lo, 0, v3, vcc_lo
	v_mov_b32_e32 v14, s10
	v_mov_b32_e32 v12, s8
	s_clause 0x3
	global_store_b128 v28, v[4:7], s[6:7]
	global_store_b128 v28, v[12:15], s[6:7] offset:16
	global_store_b128 v28, v[12:15], s[6:7] offset:32
	;; [unrolled: 1-line block ×3, first 2 shown]
	s_and_saveexec_b32 s1, s0
	s_cbranch_execz .LBB8_42
; %bb.35:
	v_mov_b32_e32 v6, 0
	s_mov_b32 s6, exec_lo
	s_clause 0x1
	global_load_b64 v[14:15], v6, s[2:3] offset:32 glc
	global_load_b64 v[2:3], v6, s[2:3] offset:40
	v_dual_mov_b32 v13, s5 :: v_dual_mov_b32 v12, s4
	s_waitcnt vmcnt(0)
	v_and_b32_e32 v3, s5, v3
	v_and_b32_e32 v2, s4, v2
	s_delay_alu instid0(VALU_DEP_2) | instskip(NEXT) | instid1(VALU_DEP_2)
	v_mul_lo_u32 v3, v3, 24
	v_mul_hi_u32 v4, v2, 24
	v_mul_lo_u32 v2, v2, 24
	s_delay_alu instid0(VALU_DEP_2) | instskip(NEXT) | instid1(VALU_DEP_2)
	v_add_nc_u32_e32 v3, v4, v3
	v_add_co_u32 v4, vcc_lo, v0, v2
	s_delay_alu instid0(VALU_DEP_2)
	v_add_co_ci_u32_e32 v5, vcc_lo, v1, v3, vcc_lo
	global_store_b64 v[4:5], v[14:15], off
	s_waitcnt_vscnt null, 0x0
	global_atomic_cmpswap_b64 v[2:3], v6, v[12:15], s[2:3] offset:32 glc
	s_waitcnt vmcnt(0)
	v_cmpx_ne_u64_e64 v[2:3], v[14:15]
	s_cbranch_execz .LBB8_38
; %bb.36:
	s_mov_b32 s7, 0
.LBB8_37:                               ; =>This Inner Loop Header: Depth=1
	v_dual_mov_b32 v0, s4 :: v_dual_mov_b32 v1, s5
	s_sleep 1
	global_store_b64 v[4:5], v[2:3], off
	s_waitcnt_vscnt null, 0x0
	global_atomic_cmpswap_b64 v[0:1], v6, v[0:3], s[2:3] offset:32 glc
	s_waitcnt vmcnt(0)
	v_cmp_eq_u64_e32 vcc_lo, v[0:1], v[2:3]
	v_dual_mov_b32 v3, v1 :: v_dual_mov_b32 v2, v0
	s_or_b32 s7, vcc_lo, s7
	s_delay_alu instid0(SALU_CYCLE_1)
	s_and_not1_b32 exec_lo, exec_lo, s7
	s_cbranch_execnz .LBB8_37
.LBB8_38:
	s_or_b32 exec_lo, exec_lo, s6
	v_mov_b32_e32 v3, 0
	s_mov_b32 s7, exec_lo
	s_mov_b32 s6, exec_lo
	v_mbcnt_lo_u32_b32 v2, s7, 0
	global_load_b64 v[0:1], v3, s[2:3] offset:16
	v_cmpx_eq_u32_e32 0, v2
	s_cbranch_execz .LBB8_40
; %bb.39:
	s_bcnt1_i32_b32 s7, s7
	s_delay_alu instid0(SALU_CYCLE_1)
	v_mov_b32_e32 v2, s7
	s_waitcnt vmcnt(0)
	global_atomic_add_u64 v[0:1], v[2:3], off offset:8
.LBB8_40:
	s_or_b32 exec_lo, exec_lo, s6
	s_waitcnt vmcnt(0)
	global_load_b64 v[2:3], v[0:1], off offset:16
	s_waitcnt vmcnt(0)
	v_cmp_eq_u64_e32 vcc_lo, 0, v[2:3]
	s_cbranch_vccnz .LBB8_42
; %bb.41:
	global_load_b32 v0, v[0:1], off offset:24
	s_waitcnt vmcnt(0)
	v_dual_mov_b32 v1, 0 :: v_dual_and_b32 v4, 0xffffff, v0
	s_waitcnt_vscnt null, 0x0
	global_store_b64 v[2:3], v[0:1], off
	v_readfirstlane_b32 m0, v4
	s_sendmsg sendmsg(MSG_INTERRUPT)
.LBB8_42:
	s_or_b32 exec_lo, exec_lo, s1
	s_branch .LBB8_46
	.p2align	6
.LBB8_43:                               ;   in Loop: Header=BB8_46 Depth=1
	s_or_b32 exec_lo, exec_lo, s1
	s_delay_alu instid0(VALU_DEP_1) | instskip(NEXT) | instid1(VALU_DEP_1)
	v_readfirstlane_b32 s1, v0
	s_cmp_eq_u32 s1, 0
	s_cbranch_scc1 .LBB8_45
; %bb.44:                               ;   in Loop: Header=BB8_46 Depth=1
	s_sleep 1
	s_cbranch_execnz .LBB8_46
	s_branch .LBB8_48
.LBB8_45:
	s_branch .LBB8_48
.LBB8_46:                               ; =>This Inner Loop Header: Depth=1
	v_mov_b32_e32 v0, 1
	s_and_saveexec_b32 s1, s0
	s_cbranch_execz .LBB8_43
; %bb.47:                               ;   in Loop: Header=BB8_46 Depth=1
	global_load_b32 v0, v[8:9], off offset:20 glc
	s_waitcnt vmcnt(0)
	buffer_gl1_inv
	buffer_gl0_inv
	v_and_b32_e32 v0, 1, v0
	s_branch .LBB8_43
.LBB8_48:
	global_load_b64 v[0:1], v[10:11], off
	s_and_saveexec_b32 s1, s0
	s_cbranch_execz .LBB8_52
; %bb.49:
	v_mov_b32_e32 v8, 0
	s_clause 0x2
	global_load_b64 v[4:5], v8, s[2:3] offset:40
	global_load_b64 v[9:10], v8, s[2:3] offset:24 glc
	global_load_b64 v[6:7], v8, s[2:3]
	s_waitcnt vmcnt(2)
	v_add_co_u32 v11, vcc_lo, v4, 1
	v_add_co_ci_u32_e32 v12, vcc_lo, 0, v5, vcc_lo
	s_delay_alu instid0(VALU_DEP_2) | instskip(NEXT) | instid1(VALU_DEP_2)
	v_add_co_u32 v2, vcc_lo, v11, s4
	v_add_co_ci_u32_e32 v3, vcc_lo, s5, v12, vcc_lo
	s_delay_alu instid0(VALU_DEP_1) | instskip(SKIP_1) | instid1(VALU_DEP_1)
	v_cmp_eq_u64_e32 vcc_lo, 0, v[2:3]
	v_dual_cndmask_b32 v3, v3, v12 :: v_dual_cndmask_b32 v2, v2, v11
	v_and_b32_e32 v5, v3, v5
	s_delay_alu instid0(VALU_DEP_2) | instskip(NEXT) | instid1(VALU_DEP_2)
	v_and_b32_e32 v4, v2, v4
	v_mul_lo_u32 v5, v5, 24
	s_delay_alu instid0(VALU_DEP_2) | instskip(SKIP_1) | instid1(VALU_DEP_2)
	v_mul_hi_u32 v11, v4, 24
	v_mul_lo_u32 v4, v4, 24
	v_add_nc_u32_e32 v5, v11, v5
	s_waitcnt vmcnt(0)
	s_delay_alu instid0(VALU_DEP_2) | instskip(SKIP_1) | instid1(VALU_DEP_3)
	v_add_co_u32 v6, vcc_lo, v6, v4
	v_mov_b32_e32 v4, v9
	v_add_co_ci_u32_e32 v7, vcc_lo, v7, v5, vcc_lo
	v_mov_b32_e32 v5, v10
	global_store_b64 v[6:7], v[9:10], off
	s_waitcnt_vscnt null, 0x0
	global_atomic_cmpswap_b64 v[4:5], v8, v[2:5], s[2:3] offset:24 glc
	s_waitcnt vmcnt(0)
	v_cmp_ne_u64_e32 vcc_lo, v[4:5], v[9:10]
	s_and_b32 exec_lo, exec_lo, vcc_lo
	s_cbranch_execz .LBB8_52
; %bb.50:
	s_mov_b32 s0, 0
.LBB8_51:                               ; =>This Inner Loop Header: Depth=1
	s_sleep 1
	global_store_b64 v[6:7], v[4:5], off
	s_waitcnt_vscnt null, 0x0
	global_atomic_cmpswap_b64 v[9:10], v8, v[2:5], s[2:3] offset:24 glc
	s_waitcnt vmcnt(0)
	v_cmp_eq_u64_e32 vcc_lo, v[9:10], v[4:5]
	v_dual_mov_b32 v4, v9 :: v_dual_mov_b32 v5, v10
	s_or_b32 s0, vcc_lo, s0
	s_delay_alu instid0(SALU_CYCLE_1)
	s_and_not1_b32 exec_lo, exec_lo, s0
	s_cbranch_execnz .LBB8_51
.LBB8_52:
	s_or_b32 exec_lo, exec_lo, s1
	s_getpc_b64 s[4:5]
	s_add_u32 s4, s4, .str.28@rel32@lo+4
	s_addc_u32 s5, s5, .str.28@rel32@hi+12
	s_delay_alu instid0(SALU_CYCLE_1)
	s_cmp_lg_u64 s[4:5], 0
	s_cbranch_scc0 .LBB8_131
; %bb.53:
	s_waitcnt vmcnt(0)
	v_dual_mov_b32 v7, v1 :: v_dual_and_b32 v6, -3, v0
	v_dual_mov_b32 v3, 0 :: v_dual_mov_b32 v4, 2
	v_mov_b32_e32 v5, 1
	s_mov_b64 s[6:7], 35
	s_branch .LBB8_55
.LBB8_54:                               ;   in Loop: Header=BB8_55 Depth=1
	s_or_b32 exec_lo, exec_lo, s1
	s_sub_u32 s6, s6, s8
	s_subb_u32 s7, s7, s9
	s_add_u32 s4, s4, s8
	s_addc_u32 s5, s5, s9
	s_cmp_lg_u64 s[6:7], 0
	s_cbranch_scc0 .LBB8_130
.LBB8_55:                               ; =>This Loop Header: Depth=1
                                        ;     Child Loop BB8_64 Depth 2
                                        ;     Child Loop BB8_60 Depth 2
	;; [unrolled: 1-line block ×11, first 2 shown]
	v_cmp_lt_u64_e64 s0, s[6:7], 56
	v_cmp_gt_u64_e64 s1, s[6:7], 7
                                        ; implicit-def: $sgpr14
	s_delay_alu instid0(VALU_DEP_2) | instskip(SKIP_2) | instid1(VALU_DEP_1)
	s_and_b32 s0, s0, exec_lo
	s_cselect_b32 s9, s7, 0
	s_cselect_b32 s8, s6, 56
	s_and_b32 vcc_lo, exec_lo, s1
	s_mov_b32 s0, -1
	s_cbranch_vccz .LBB8_62
; %bb.56:                               ;   in Loop: Header=BB8_55 Depth=1
	s_and_not1_b32 vcc_lo, exec_lo, s0
	s_mov_b64 s[0:1], s[4:5]
	s_cbranch_vccz .LBB8_66
.LBB8_57:                               ;   in Loop: Header=BB8_55 Depth=1
	s_cmp_gt_u32 s14, 7
	s_cbranch_scc1 .LBB8_67
.LBB8_58:                               ;   in Loop: Header=BB8_55 Depth=1
	v_mov_b32_e32 v10, 0
	v_mov_b32_e32 v11, 0
	s_cmp_eq_u32 s14, 0
	s_cbranch_scc1 .LBB8_61
; %bb.59:                               ;   in Loop: Header=BB8_55 Depth=1
	s_mov_b64 s[10:11], 0
	s_mov_b64 s[12:13], 0
.LBB8_60:                               ;   Parent Loop BB8_55 Depth=1
                                        ; =>  This Inner Loop Header: Depth=2
	s_delay_alu instid0(SALU_CYCLE_1)
	s_add_u32 s24, s0, s12
	s_addc_u32 s25, s1, s13
	s_add_u32 s12, s12, 1
	global_load_u8 v2, v3, s[24:25]
	s_addc_u32 s13, s13, 0
	s_waitcnt vmcnt(0)
	v_and_b32_e32 v2, 0xffff, v2
	s_delay_alu instid0(VALU_DEP_1) | instskip(SKIP_3) | instid1(VALU_DEP_1)
	v_lshlrev_b64 v[12:13], s10, v[2:3]
	s_add_u32 s10, s10, 8
	s_addc_u32 s11, s11, 0
	s_cmp_lg_u32 s14, s12
	v_or_b32_e32 v10, v12, v10
	s_delay_alu instid0(VALU_DEP_2)
	v_or_b32_e32 v11, v13, v11
	s_cbranch_scc1 .LBB8_60
.LBB8_61:                               ;   in Loop: Header=BB8_55 Depth=1
	s_mov_b32 s15, 0
	s_cbranch_execz .LBB8_68
	s_branch .LBB8_69
.LBB8_62:                               ;   in Loop: Header=BB8_55 Depth=1
	s_waitcnt vmcnt(0)
	v_mov_b32_e32 v8, 0
	v_mov_b32_e32 v9, 0
	s_cmp_eq_u64 s[6:7], 0
	s_mov_b64 s[0:1], 0
	s_cbranch_scc1 .LBB8_65
; %bb.63:                               ;   in Loop: Header=BB8_55 Depth=1
	v_mov_b32_e32 v8, 0
	v_mov_b32_e32 v9, 0
	s_lshl_b64 s[10:11], s[8:9], 3
	s_mov_b64 s[12:13], s[4:5]
.LBB8_64:                               ;   Parent Loop BB8_55 Depth=1
                                        ; =>  This Inner Loop Header: Depth=2
	global_load_u8 v2, v3, s[12:13]
	s_waitcnt vmcnt(0)
	v_and_b32_e32 v2, 0xffff, v2
	s_delay_alu instid0(VALU_DEP_1)
	v_lshlrev_b64 v[10:11], s0, v[2:3]
	s_add_u32 s0, s0, 8
	s_addc_u32 s1, s1, 0
	s_add_u32 s12, s12, 1
	s_addc_u32 s13, s13, 0
	s_cmp_lg_u32 s10, s0
	v_or_b32_e32 v8, v10, v8
	v_or_b32_e32 v9, v11, v9
	s_cbranch_scc1 .LBB8_64
.LBB8_65:                               ;   in Loop: Header=BB8_55 Depth=1
	s_mov_b32 s14, 0
	s_mov_b64 s[0:1], s[4:5]
	s_cbranch_execnz .LBB8_57
.LBB8_66:                               ;   in Loop: Header=BB8_55 Depth=1
	global_load_b64 v[8:9], v3, s[4:5]
	s_add_i32 s14, s8, -8
	s_add_u32 s0, s4, 8
	s_addc_u32 s1, s5, 0
	s_cmp_gt_u32 s14, 7
	s_cbranch_scc0 .LBB8_58
.LBB8_67:                               ;   in Loop: Header=BB8_55 Depth=1
                                        ; implicit-def: $vgpr10_vgpr11
                                        ; implicit-def: $sgpr15
.LBB8_68:                               ;   in Loop: Header=BB8_55 Depth=1
	global_load_b64 v[10:11], v3, s[0:1]
	s_add_i32 s15, s14, -8
	s_add_u32 s0, s0, 8
	s_addc_u32 s1, s1, 0
.LBB8_69:                               ;   in Loop: Header=BB8_55 Depth=1
	s_cmp_gt_u32 s15, 7
	s_cbranch_scc1 .LBB8_74
; %bb.70:                               ;   in Loop: Header=BB8_55 Depth=1
	v_mov_b32_e32 v12, 0
	v_mov_b32_e32 v13, 0
	s_cmp_eq_u32 s15, 0
	s_cbranch_scc1 .LBB8_73
; %bb.71:                               ;   in Loop: Header=BB8_55 Depth=1
	s_mov_b64 s[10:11], 0
	s_mov_b64 s[12:13], 0
.LBB8_72:                               ;   Parent Loop BB8_55 Depth=1
                                        ; =>  This Inner Loop Header: Depth=2
	s_delay_alu instid0(SALU_CYCLE_1)
	s_add_u32 s24, s0, s12
	s_addc_u32 s25, s1, s13
	s_add_u32 s12, s12, 1
	global_load_u8 v2, v3, s[24:25]
	s_addc_u32 s13, s13, 0
	s_waitcnt vmcnt(0)
	v_and_b32_e32 v2, 0xffff, v2
	s_delay_alu instid0(VALU_DEP_1) | instskip(SKIP_3) | instid1(VALU_DEP_1)
	v_lshlrev_b64 v[14:15], s10, v[2:3]
	s_add_u32 s10, s10, 8
	s_addc_u32 s11, s11, 0
	s_cmp_lg_u32 s15, s12
	v_or_b32_e32 v12, v14, v12
	s_delay_alu instid0(VALU_DEP_2)
	v_or_b32_e32 v13, v15, v13
	s_cbranch_scc1 .LBB8_72
.LBB8_73:                               ;   in Loop: Header=BB8_55 Depth=1
	s_mov_b32 s14, 0
	s_cbranch_execz .LBB8_75
	s_branch .LBB8_76
.LBB8_74:                               ;   in Loop: Header=BB8_55 Depth=1
                                        ; implicit-def: $sgpr14
.LBB8_75:                               ;   in Loop: Header=BB8_55 Depth=1
	global_load_b64 v[12:13], v3, s[0:1]
	s_add_i32 s14, s15, -8
	s_add_u32 s0, s0, 8
	s_addc_u32 s1, s1, 0
.LBB8_76:                               ;   in Loop: Header=BB8_55 Depth=1
	s_cmp_gt_u32 s14, 7
	s_cbranch_scc1 .LBB8_81
; %bb.77:                               ;   in Loop: Header=BB8_55 Depth=1
	v_mov_b32_e32 v14, 0
	v_mov_b32_e32 v15, 0
	s_cmp_eq_u32 s14, 0
	s_cbranch_scc1 .LBB8_80
; %bb.78:                               ;   in Loop: Header=BB8_55 Depth=1
	s_mov_b64 s[10:11], 0
	s_mov_b64 s[12:13], 0
.LBB8_79:                               ;   Parent Loop BB8_55 Depth=1
                                        ; =>  This Inner Loop Header: Depth=2
	s_delay_alu instid0(SALU_CYCLE_1)
	s_add_u32 s24, s0, s12
	s_addc_u32 s25, s1, s13
	s_add_u32 s12, s12, 1
	global_load_u8 v2, v3, s[24:25]
	s_addc_u32 s13, s13, 0
	s_waitcnt vmcnt(0)
	v_and_b32_e32 v2, 0xffff, v2
	s_delay_alu instid0(VALU_DEP_1) | instskip(SKIP_3) | instid1(VALU_DEP_1)
	v_lshlrev_b64 v[16:17], s10, v[2:3]
	s_add_u32 s10, s10, 8
	s_addc_u32 s11, s11, 0
	s_cmp_lg_u32 s14, s12
	v_or_b32_e32 v14, v16, v14
	s_delay_alu instid0(VALU_DEP_2)
	v_or_b32_e32 v15, v17, v15
	s_cbranch_scc1 .LBB8_79
.LBB8_80:                               ;   in Loop: Header=BB8_55 Depth=1
	s_mov_b32 s15, 0
	s_cbranch_execz .LBB8_82
	s_branch .LBB8_83
.LBB8_81:                               ;   in Loop: Header=BB8_55 Depth=1
                                        ; implicit-def: $vgpr14_vgpr15
                                        ; implicit-def: $sgpr15
.LBB8_82:                               ;   in Loop: Header=BB8_55 Depth=1
	global_load_b64 v[14:15], v3, s[0:1]
	s_add_i32 s15, s14, -8
	s_add_u32 s0, s0, 8
	s_addc_u32 s1, s1, 0
.LBB8_83:                               ;   in Loop: Header=BB8_55 Depth=1
	s_cmp_gt_u32 s15, 7
	s_cbranch_scc1 .LBB8_88
; %bb.84:                               ;   in Loop: Header=BB8_55 Depth=1
	v_mov_b32_e32 v16, 0
	v_mov_b32_e32 v17, 0
	s_cmp_eq_u32 s15, 0
	s_cbranch_scc1 .LBB8_87
; %bb.85:                               ;   in Loop: Header=BB8_55 Depth=1
	s_mov_b64 s[10:11], 0
	s_mov_b64 s[12:13], 0
.LBB8_86:                               ;   Parent Loop BB8_55 Depth=1
                                        ; =>  This Inner Loop Header: Depth=2
	s_delay_alu instid0(SALU_CYCLE_1)
	s_add_u32 s24, s0, s12
	s_addc_u32 s25, s1, s13
	s_add_u32 s12, s12, 1
	global_load_u8 v2, v3, s[24:25]
	s_addc_u32 s13, s13, 0
	s_waitcnt vmcnt(0)
	v_and_b32_e32 v2, 0xffff, v2
	s_delay_alu instid0(VALU_DEP_1) | instskip(SKIP_3) | instid1(VALU_DEP_1)
	v_lshlrev_b64 v[18:19], s10, v[2:3]
	s_add_u32 s10, s10, 8
	s_addc_u32 s11, s11, 0
	s_cmp_lg_u32 s15, s12
	v_or_b32_e32 v16, v18, v16
	s_delay_alu instid0(VALU_DEP_2)
	v_or_b32_e32 v17, v19, v17
	s_cbranch_scc1 .LBB8_86
.LBB8_87:                               ;   in Loop: Header=BB8_55 Depth=1
	s_mov_b32 s14, 0
	s_cbranch_execz .LBB8_89
	s_branch .LBB8_90
.LBB8_88:                               ;   in Loop: Header=BB8_55 Depth=1
                                        ; implicit-def: $sgpr14
.LBB8_89:                               ;   in Loop: Header=BB8_55 Depth=1
	global_load_b64 v[16:17], v3, s[0:1]
	s_add_i32 s14, s15, -8
	s_add_u32 s0, s0, 8
	s_addc_u32 s1, s1, 0
.LBB8_90:                               ;   in Loop: Header=BB8_55 Depth=1
	s_cmp_gt_u32 s14, 7
	s_cbranch_scc1 .LBB8_95
; %bb.91:                               ;   in Loop: Header=BB8_55 Depth=1
	v_mov_b32_e32 v18, 0
	v_mov_b32_e32 v19, 0
	s_cmp_eq_u32 s14, 0
	s_cbranch_scc1 .LBB8_94
; %bb.92:                               ;   in Loop: Header=BB8_55 Depth=1
	s_mov_b64 s[10:11], 0
	s_mov_b64 s[12:13], 0
.LBB8_93:                               ;   Parent Loop BB8_55 Depth=1
                                        ; =>  This Inner Loop Header: Depth=2
	s_delay_alu instid0(SALU_CYCLE_1)
	s_add_u32 s24, s0, s12
	s_addc_u32 s25, s1, s13
	s_add_u32 s12, s12, 1
	global_load_u8 v2, v3, s[24:25]
	s_addc_u32 s13, s13, 0
	s_waitcnt vmcnt(0)
	v_and_b32_e32 v2, 0xffff, v2
	s_delay_alu instid0(VALU_DEP_1) | instskip(SKIP_3) | instid1(VALU_DEP_1)
	v_lshlrev_b64 v[20:21], s10, v[2:3]
	s_add_u32 s10, s10, 8
	s_addc_u32 s11, s11, 0
	s_cmp_lg_u32 s14, s12
	v_or_b32_e32 v18, v20, v18
	s_delay_alu instid0(VALU_DEP_2)
	v_or_b32_e32 v19, v21, v19
	s_cbranch_scc1 .LBB8_93
.LBB8_94:                               ;   in Loop: Header=BB8_55 Depth=1
	s_mov_b32 s15, 0
	s_cbranch_execz .LBB8_96
	s_branch .LBB8_97
.LBB8_95:                               ;   in Loop: Header=BB8_55 Depth=1
                                        ; implicit-def: $vgpr18_vgpr19
                                        ; implicit-def: $sgpr15
.LBB8_96:                               ;   in Loop: Header=BB8_55 Depth=1
	global_load_b64 v[18:19], v3, s[0:1]
	s_add_i32 s15, s14, -8
	s_add_u32 s0, s0, 8
	s_addc_u32 s1, s1, 0
.LBB8_97:                               ;   in Loop: Header=BB8_55 Depth=1
	s_cmp_gt_u32 s15, 7
	s_cbranch_scc1 .LBB8_102
; %bb.98:                               ;   in Loop: Header=BB8_55 Depth=1
	v_mov_b32_e32 v20, 0
	v_mov_b32_e32 v21, 0
	s_cmp_eq_u32 s15, 0
	s_cbranch_scc1 .LBB8_101
; %bb.99:                               ;   in Loop: Header=BB8_55 Depth=1
	s_mov_b64 s[10:11], 0
	s_mov_b64 s[12:13], s[0:1]
.LBB8_100:                              ;   Parent Loop BB8_55 Depth=1
                                        ; =>  This Inner Loop Header: Depth=2
	global_load_u8 v2, v3, s[12:13]
	s_add_i32 s15, s15, -1
	s_waitcnt vmcnt(0)
	v_and_b32_e32 v2, 0xffff, v2
	s_delay_alu instid0(VALU_DEP_1)
	v_lshlrev_b64 v[22:23], s10, v[2:3]
	s_add_u32 s10, s10, 8
	s_addc_u32 s11, s11, 0
	s_add_u32 s12, s12, 1
	s_addc_u32 s13, s13, 0
	s_cmp_lg_u32 s15, 0
	v_or_b32_e32 v20, v22, v20
	v_or_b32_e32 v21, v23, v21
	s_cbranch_scc1 .LBB8_100
.LBB8_101:                              ;   in Loop: Header=BB8_55 Depth=1
	s_cbranch_execz .LBB8_103
	s_branch .LBB8_104
.LBB8_102:                              ;   in Loop: Header=BB8_55 Depth=1
.LBB8_103:                              ;   in Loop: Header=BB8_55 Depth=1
	global_load_b64 v[20:21], v3, s[0:1]
.LBB8_104:                              ;   in Loop: Header=BB8_55 Depth=1
	v_readfirstlane_b32 s0, v29
	v_mov_b32_e32 v26, 0
	v_mov_b32_e32 v27, 0
	s_delay_alu instid0(VALU_DEP_3) | instskip(NEXT) | instid1(VALU_DEP_1)
	v_cmp_eq_u32_e64 s0, s0, v29
	s_and_saveexec_b32 s1, s0
	s_cbranch_execz .LBB8_110
; %bb.105:                              ;   in Loop: Header=BB8_55 Depth=1
	global_load_b64 v[24:25], v3, s[2:3] offset:24 glc
	s_waitcnt vmcnt(0)
	buffer_gl1_inv
	buffer_gl0_inv
	s_clause 0x1
	global_load_b64 v[22:23], v3, s[2:3] offset:40
	global_load_b64 v[26:27], v3, s[2:3]
	s_mov_b32 s10, exec_lo
	s_waitcnt vmcnt(1)
	v_and_b32_e32 v2, v23, v25
	v_and_b32_e32 v22, v22, v24
	s_delay_alu instid0(VALU_DEP_2) | instskip(NEXT) | instid1(VALU_DEP_2)
	v_mul_lo_u32 v2, v2, 24
	v_mul_hi_u32 v23, v22, 24
	v_mul_lo_u32 v22, v22, 24
	s_delay_alu instid0(VALU_DEP_2) | instskip(SKIP_1) | instid1(VALU_DEP_2)
	v_add_nc_u32_e32 v2, v23, v2
	s_waitcnt vmcnt(0)
	v_add_co_u32 v22, vcc_lo, v26, v22
	s_delay_alu instid0(VALU_DEP_2)
	v_add_co_ci_u32_e32 v23, vcc_lo, v27, v2, vcc_lo
	global_load_b64 v[22:23], v[22:23], off glc
	s_waitcnt vmcnt(0)
	global_atomic_cmpswap_b64 v[26:27], v3, v[22:25], s[2:3] offset:24 glc
	s_waitcnt vmcnt(0)
	buffer_gl1_inv
	buffer_gl0_inv
	v_cmpx_ne_u64_e64 v[26:27], v[24:25]
	s_cbranch_execz .LBB8_109
; %bb.106:                              ;   in Loop: Header=BB8_55 Depth=1
	s_mov_b32 s11, 0
	.p2align	6
.LBB8_107:                              ;   Parent Loop BB8_55 Depth=1
                                        ; =>  This Inner Loop Header: Depth=2
	s_sleep 1
	s_clause 0x1
	global_load_b64 v[22:23], v3, s[2:3] offset:40
	global_load_b64 v[30:31], v3, s[2:3]
	v_dual_mov_b32 v24, v26 :: v_dual_mov_b32 v25, v27
	s_waitcnt vmcnt(1)
	s_delay_alu instid0(VALU_DEP_1) | instskip(SKIP_1) | instid1(VALU_DEP_1)
	v_and_b32_e32 v2, v22, v24
	s_waitcnt vmcnt(0)
	v_mad_u64_u32 v[26:27], null, v2, 24, v[30:31]
	v_and_b32_e32 v30, v23, v25
	s_delay_alu instid0(VALU_DEP_2) | instskip(NEXT) | instid1(VALU_DEP_1)
	v_mov_b32_e32 v2, v27
	v_mad_u64_u32 v[22:23], null, v30, 24, v[2:3]
	s_delay_alu instid0(VALU_DEP_1)
	v_mov_b32_e32 v27, v22
	global_load_b64 v[22:23], v[26:27], off glc
	s_waitcnt vmcnt(0)
	global_atomic_cmpswap_b64 v[26:27], v3, v[22:25], s[2:3] offset:24 glc
	s_waitcnt vmcnt(0)
	buffer_gl1_inv
	buffer_gl0_inv
	v_cmp_eq_u64_e32 vcc_lo, v[26:27], v[24:25]
	s_or_b32 s11, vcc_lo, s11
	s_delay_alu instid0(SALU_CYCLE_1)
	s_and_not1_b32 exec_lo, exec_lo, s11
	s_cbranch_execnz .LBB8_107
; %bb.108:                              ;   in Loop: Header=BB8_55 Depth=1
	s_or_b32 exec_lo, exec_lo, s11
.LBB8_109:                              ;   in Loop: Header=BB8_55 Depth=1
	s_delay_alu instid0(SALU_CYCLE_1)
	s_or_b32 exec_lo, exec_lo, s10
.LBB8_110:                              ;   in Loop: Header=BB8_55 Depth=1
	s_delay_alu instid0(SALU_CYCLE_1)
	s_or_b32 exec_lo, exec_lo, s1
	s_clause 0x1
	global_load_b64 v[30:31], v3, s[2:3] offset:40
	global_load_b128 v[22:25], v3, s[2:3]
	v_readfirstlane_b32 s10, v26
	v_readfirstlane_b32 s11, v27
	s_mov_b32 s1, exec_lo
	s_waitcnt vmcnt(1)
	v_readfirstlane_b32 s12, v30
	v_readfirstlane_b32 s13, v31
	s_delay_alu instid0(VALU_DEP_1) | instskip(NEXT) | instid1(SALU_CYCLE_1)
	s_and_b64 s[12:13], s[10:11], s[12:13]
	s_mul_i32 s14, s13, 24
	s_mul_hi_u32 s15, s12, 24
	s_mul_i32 s16, s12, 24
	s_add_i32 s15, s15, s14
	s_waitcnt vmcnt(0)
	v_add_co_u32 v26, vcc_lo, v22, s16
	v_add_co_ci_u32_e32 v27, vcc_lo, s15, v23, vcc_lo
	s_and_saveexec_b32 s14, s0
	s_cbranch_execz .LBB8_112
; %bb.111:                              ;   in Loop: Header=BB8_55 Depth=1
	v_mov_b32_e32 v2, s1
	global_store_b128 v[26:27], v[2:5], off offset:8
.LBB8_112:                              ;   in Loop: Header=BB8_55 Depth=1
	s_or_b32 exec_lo, exec_lo, s14
	s_lshl_b64 s[12:13], s[12:13], 12
	v_or_b32_e32 v2, 2, v6
	v_add_co_u32 v24, vcc_lo, v24, s12
	v_add_co_ci_u32_e32 v25, vcc_lo, s13, v25, vcc_lo
	v_cmp_gt_u64_e64 vcc_lo, s[6:7], 56
	s_lshl_b32 s1, s8, 2
	s_delay_alu instid0(VALU_DEP_3) | instskip(SKIP_4) | instid1(VALU_DEP_1)
	v_readfirstlane_b32 s12, v24
	s_add_i32 s1, s1, 28
	v_readfirstlane_b32 s13, v25
	s_and_b32 s1, s1, 0x1e0
	v_cndmask_b32_e32 v2, v2, v6, vcc_lo
	v_and_or_b32 v6, 0xffffff1f, v2, s1
	s_clause 0x3
	global_store_b128 v28, v[6:9], s[12:13]
	global_store_b128 v28, v[10:13], s[12:13] offset:16
	global_store_b128 v28, v[14:17], s[12:13] offset:32
	;; [unrolled: 1-line block ×3, first 2 shown]
	s_and_saveexec_b32 s1, s0
	s_cbranch_execz .LBB8_120
; %bb.113:                              ;   in Loop: Header=BB8_55 Depth=1
	s_clause 0x1
	global_load_b64 v[14:15], v3, s[2:3] offset:32 glc
	global_load_b64 v[6:7], v3, s[2:3] offset:40
	v_dual_mov_b32 v12, s10 :: v_dual_mov_b32 v13, s11
	s_waitcnt vmcnt(0)
	v_readfirstlane_b32 s12, v6
	v_readfirstlane_b32 s13, v7
	s_delay_alu instid0(VALU_DEP_1) | instskip(NEXT) | instid1(SALU_CYCLE_1)
	s_and_b64 s[12:13], s[12:13], s[10:11]
	s_mul_i32 s13, s13, 24
	s_mul_hi_u32 s14, s12, 24
	s_mul_i32 s12, s12, 24
	s_add_i32 s14, s14, s13
	v_add_co_u32 v10, vcc_lo, v22, s12
	v_add_co_ci_u32_e32 v11, vcc_lo, s14, v23, vcc_lo
	s_mov_b32 s12, exec_lo
	global_store_b64 v[10:11], v[14:15], off
	s_waitcnt_vscnt null, 0x0
	global_atomic_cmpswap_b64 v[8:9], v3, v[12:15], s[2:3] offset:32 glc
	s_waitcnt vmcnt(0)
	v_cmpx_ne_u64_e64 v[8:9], v[14:15]
	s_cbranch_execz .LBB8_116
; %bb.114:                              ;   in Loop: Header=BB8_55 Depth=1
	s_mov_b32 s13, 0
.LBB8_115:                              ;   Parent Loop BB8_55 Depth=1
                                        ; =>  This Inner Loop Header: Depth=2
	v_dual_mov_b32 v6, s10 :: v_dual_mov_b32 v7, s11
	s_sleep 1
	global_store_b64 v[10:11], v[8:9], off
	s_waitcnt_vscnt null, 0x0
	global_atomic_cmpswap_b64 v[6:7], v3, v[6:9], s[2:3] offset:32 glc
	s_waitcnt vmcnt(0)
	v_cmp_eq_u64_e32 vcc_lo, v[6:7], v[8:9]
	v_dual_mov_b32 v9, v7 :: v_dual_mov_b32 v8, v6
	s_or_b32 s13, vcc_lo, s13
	s_delay_alu instid0(SALU_CYCLE_1)
	s_and_not1_b32 exec_lo, exec_lo, s13
	s_cbranch_execnz .LBB8_115
.LBB8_116:                              ;   in Loop: Header=BB8_55 Depth=1
	s_or_b32 exec_lo, exec_lo, s12
	global_load_b64 v[6:7], v3, s[2:3] offset:16
	s_mov_b32 s13, exec_lo
	s_mov_b32 s12, exec_lo
	v_mbcnt_lo_u32_b32 v2, s13, 0
	s_delay_alu instid0(VALU_DEP_1)
	v_cmpx_eq_u32_e32 0, v2
	s_cbranch_execz .LBB8_118
; %bb.117:                              ;   in Loop: Header=BB8_55 Depth=1
	s_bcnt1_i32_b32 s13, s13
	s_delay_alu instid0(SALU_CYCLE_1)
	v_mov_b32_e32 v2, s13
	s_waitcnt vmcnt(0)
	global_atomic_add_u64 v[6:7], v[2:3], off offset:8
.LBB8_118:                              ;   in Loop: Header=BB8_55 Depth=1
	s_or_b32 exec_lo, exec_lo, s12
	s_waitcnt vmcnt(0)
	global_load_b64 v[8:9], v[6:7], off offset:16
	s_waitcnt vmcnt(0)
	v_cmp_eq_u64_e32 vcc_lo, 0, v[8:9]
	s_cbranch_vccnz .LBB8_120
; %bb.119:                              ;   in Loop: Header=BB8_55 Depth=1
	global_load_b32 v2, v[6:7], off offset:24
	s_waitcnt vmcnt(0)
	v_and_b32_e32 v6, 0xffffff, v2
	s_waitcnt_vscnt null, 0x0
	global_store_b64 v[8:9], v[2:3], off
	v_readfirstlane_b32 m0, v6
	s_sendmsg sendmsg(MSG_INTERRUPT)
.LBB8_120:                              ;   in Loop: Header=BB8_55 Depth=1
	s_or_b32 exec_lo, exec_lo, s1
	v_add_co_u32 v6, vcc_lo, v24, v28
	v_add_co_ci_u32_e32 v7, vcc_lo, 0, v25, vcc_lo
	s_branch .LBB8_124
	.p2align	6
.LBB8_121:                              ;   in Loop: Header=BB8_124 Depth=2
	s_or_b32 exec_lo, exec_lo, s1
	s_delay_alu instid0(VALU_DEP_1) | instskip(NEXT) | instid1(VALU_DEP_1)
	v_readfirstlane_b32 s1, v2
	s_cmp_eq_u32 s1, 0
	s_cbranch_scc1 .LBB8_123
; %bb.122:                              ;   in Loop: Header=BB8_124 Depth=2
	s_sleep 1
	s_cbranch_execnz .LBB8_124
	s_branch .LBB8_126
	.p2align	6
.LBB8_123:                              ;   in Loop: Header=BB8_55 Depth=1
	s_branch .LBB8_126
.LBB8_124:                              ;   Parent Loop BB8_55 Depth=1
                                        ; =>  This Inner Loop Header: Depth=2
	v_mov_b32_e32 v2, 1
	s_and_saveexec_b32 s1, s0
	s_cbranch_execz .LBB8_121
; %bb.125:                              ;   in Loop: Header=BB8_124 Depth=2
	global_load_b32 v2, v[26:27], off offset:20 glc
	s_waitcnt vmcnt(0)
	buffer_gl1_inv
	buffer_gl0_inv
	v_and_b32_e32 v2, 1, v2
	s_branch .LBB8_121
.LBB8_126:                              ;   in Loop: Header=BB8_55 Depth=1
	global_load_b128 v[6:9], v[6:7], off
	s_and_saveexec_b32 s1, s0
	s_cbranch_execz .LBB8_54
; %bb.127:                              ;   in Loop: Header=BB8_55 Depth=1
	s_clause 0x2
	global_load_b64 v[10:11], v3, s[2:3] offset:40
	global_load_b64 v[14:15], v3, s[2:3] offset:24 glc
	global_load_b64 v[12:13], v3, s[2:3]
	s_waitcnt vmcnt(2)
	v_add_co_u32 v2, vcc_lo, v10, 1
	v_add_co_ci_u32_e32 v16, vcc_lo, 0, v11, vcc_lo
	s_delay_alu instid0(VALU_DEP_2) | instskip(NEXT) | instid1(VALU_DEP_2)
	v_add_co_u32 v8, vcc_lo, v2, s10
	v_add_co_ci_u32_e32 v9, vcc_lo, s11, v16, vcc_lo
	s_delay_alu instid0(VALU_DEP_1) | instskip(SKIP_1) | instid1(VALU_DEP_1)
	v_cmp_eq_u64_e32 vcc_lo, 0, v[8:9]
	v_dual_cndmask_b32 v9, v9, v16 :: v_dual_cndmask_b32 v8, v8, v2
	v_and_b32_e32 v2, v9, v11
	s_delay_alu instid0(VALU_DEP_2) | instskip(NEXT) | instid1(VALU_DEP_2)
	v_and_b32_e32 v10, v8, v10
	v_mul_lo_u32 v2, v2, 24
	s_delay_alu instid0(VALU_DEP_2) | instskip(SKIP_1) | instid1(VALU_DEP_2)
	v_mul_hi_u32 v11, v10, 24
	v_mul_lo_u32 v10, v10, 24
	v_add_nc_u32_e32 v2, v11, v2
	s_waitcnt vmcnt(1)
	v_mov_b32_e32 v11, v15
	s_waitcnt vmcnt(0)
	s_delay_alu instid0(VALU_DEP_3)
	v_add_co_u32 v12, vcc_lo, v12, v10
	v_mov_b32_e32 v10, v14
	v_add_co_ci_u32_e32 v13, vcc_lo, v13, v2, vcc_lo
	global_store_b64 v[12:13], v[14:15], off
	s_waitcnt_vscnt null, 0x0
	global_atomic_cmpswap_b64 v[10:11], v3, v[8:11], s[2:3] offset:24 glc
	s_waitcnt vmcnt(0)
	v_cmp_ne_u64_e32 vcc_lo, v[10:11], v[14:15]
	s_and_b32 exec_lo, exec_lo, vcc_lo
	s_cbranch_execz .LBB8_54
; %bb.128:                              ;   in Loop: Header=BB8_55 Depth=1
	s_mov_b32 s0, 0
.LBB8_129:                              ;   Parent Loop BB8_55 Depth=1
                                        ; =>  This Inner Loop Header: Depth=2
	s_sleep 1
	global_store_b64 v[12:13], v[10:11], off
	s_waitcnt_vscnt null, 0x0
	global_atomic_cmpswap_b64 v[14:15], v3, v[8:11], s[2:3] offset:24 glc
	s_waitcnt vmcnt(0)
	v_cmp_eq_u64_e32 vcc_lo, v[14:15], v[10:11]
	v_dual_mov_b32 v10, v14 :: v_dual_mov_b32 v11, v15
	s_or_b32 s0, vcc_lo, s0
	s_delay_alu instid0(SALU_CYCLE_1)
	s_and_not1_b32 exec_lo, exec_lo, s0
	s_cbranch_execnz .LBB8_129
	s_branch .LBB8_54
.LBB8_130:
	s_mov_b32 s0, 0
	s_branch .LBB8_132
.LBB8_131:
	s_mov_b32 s0, -1
.LBB8_132:
	s_delay_alu instid0(SALU_CYCLE_1)
	s_and_b32 vcc_lo, exec_lo, s0
	s_cbranch_vccz .LBB8_160
; %bb.133:
	v_readfirstlane_b32 s0, v29
	s_waitcnt vmcnt(0)
	v_mov_b32_e32 v8, 0
	v_mov_b32_e32 v9, 0
	s_delay_alu instid0(VALU_DEP_3) | instskip(NEXT) | instid1(VALU_DEP_1)
	v_cmp_eq_u32_e64 s0, s0, v29
	s_and_saveexec_b32 s1, s0
	s_cbranch_execz .LBB8_139
; %bb.134:
	v_mov_b32_e32 v2, 0
	s_mov_b32 s4, exec_lo
	global_load_b64 v[5:6], v2, s[2:3] offset:24 glc
	s_waitcnt vmcnt(0)
	buffer_gl1_inv
	buffer_gl0_inv
	s_clause 0x1
	global_load_b64 v[3:4], v2, s[2:3] offset:40
	global_load_b64 v[7:8], v2, s[2:3]
	s_waitcnt vmcnt(1)
	v_and_b32_e32 v3, v3, v5
	v_and_b32_e32 v4, v4, v6
	s_delay_alu instid0(VALU_DEP_2) | instskip(NEXT) | instid1(VALU_DEP_2)
	v_mul_hi_u32 v9, v3, 24
	v_mul_lo_u32 v4, v4, 24
	v_mul_lo_u32 v3, v3, 24
	s_delay_alu instid0(VALU_DEP_2) | instskip(SKIP_1) | instid1(VALU_DEP_2)
	v_add_nc_u32_e32 v4, v9, v4
	s_waitcnt vmcnt(0)
	v_add_co_u32 v3, vcc_lo, v7, v3
	s_delay_alu instid0(VALU_DEP_2)
	v_add_co_ci_u32_e32 v4, vcc_lo, v8, v4, vcc_lo
	global_load_b64 v[3:4], v[3:4], off glc
	s_waitcnt vmcnt(0)
	global_atomic_cmpswap_b64 v[8:9], v2, v[3:6], s[2:3] offset:24 glc
	s_waitcnt vmcnt(0)
	buffer_gl1_inv
	buffer_gl0_inv
	v_cmpx_ne_u64_e64 v[8:9], v[5:6]
	s_cbranch_execz .LBB8_138
; %bb.135:
	s_mov_b32 s5, 0
.LBB8_136:                              ; =>This Inner Loop Header: Depth=1
	s_sleep 1
	s_clause 0x1
	global_load_b64 v[3:4], v2, s[2:3] offset:40
	global_load_b64 v[10:11], v2, s[2:3]
	v_dual_mov_b32 v5, v8 :: v_dual_mov_b32 v6, v9
	s_waitcnt vmcnt(1)
	s_delay_alu instid0(VALU_DEP_1) | instskip(NEXT) | instid1(VALU_DEP_2)
	v_and_b32_e32 v3, v3, v5
	v_and_b32_e32 v4, v4, v6
	s_waitcnt vmcnt(0)
	s_delay_alu instid0(VALU_DEP_2) | instskip(NEXT) | instid1(VALU_DEP_1)
	v_mad_u64_u32 v[7:8], null, v3, 24, v[10:11]
	v_mov_b32_e32 v3, v8
	s_delay_alu instid0(VALU_DEP_1)
	v_mad_u64_u32 v[8:9], null, v4, 24, v[3:4]
	global_load_b64 v[3:4], v[7:8], off glc
	s_waitcnt vmcnt(0)
	global_atomic_cmpswap_b64 v[8:9], v2, v[3:6], s[2:3] offset:24 glc
	s_waitcnt vmcnt(0)
	buffer_gl1_inv
	buffer_gl0_inv
	v_cmp_eq_u64_e32 vcc_lo, v[8:9], v[5:6]
	s_or_b32 s5, vcc_lo, s5
	s_delay_alu instid0(SALU_CYCLE_1)
	s_and_not1_b32 exec_lo, exec_lo, s5
	s_cbranch_execnz .LBB8_136
; %bb.137:
	s_or_b32 exec_lo, exec_lo, s5
.LBB8_138:
	s_delay_alu instid0(SALU_CYCLE_1)
	s_or_b32 exec_lo, exec_lo, s4
.LBB8_139:
	s_delay_alu instid0(SALU_CYCLE_1)
	s_or_b32 exec_lo, exec_lo, s1
	v_mov_b32_e32 v2, 0
	v_readfirstlane_b32 s4, v8
	v_readfirstlane_b32 s5, v9
	s_mov_b32 s1, exec_lo
	s_clause 0x1
	global_load_b64 v[10:11], v2, s[2:3] offset:40
	global_load_b128 v[4:7], v2, s[2:3]
	s_waitcnt vmcnt(1)
	v_readfirstlane_b32 s6, v10
	v_readfirstlane_b32 s7, v11
	s_delay_alu instid0(VALU_DEP_1) | instskip(NEXT) | instid1(SALU_CYCLE_1)
	s_and_b64 s[6:7], s[4:5], s[6:7]
	s_mul_i32 s8, s7, 24
	s_mul_hi_u32 s9, s6, 24
	s_mul_i32 s10, s6, 24
	s_add_i32 s9, s9, s8
	s_waitcnt vmcnt(0)
	v_add_co_u32 v8, vcc_lo, v4, s10
	v_add_co_ci_u32_e32 v9, vcc_lo, s9, v5, vcc_lo
	s_and_saveexec_b32 s8, s0
	s_cbranch_execz .LBB8_141
; %bb.140:
	v_dual_mov_b32 v10, s1 :: v_dual_mov_b32 v11, v2
	v_dual_mov_b32 v12, 2 :: v_dual_mov_b32 v13, 1
	global_store_b128 v[8:9], v[10:13], off offset:8
.LBB8_141:
	s_or_b32 exec_lo, exec_lo, s8
	s_lshl_b64 s[6:7], s[6:7], 12
	s_mov_b32 s8, 0
	v_add_co_u32 v6, vcc_lo, v6, s6
	v_add_co_ci_u32_e32 v7, vcc_lo, s7, v7, vcc_lo
	s_mov_b32 s11, s8
	s_mov_b32 s9, s8
	;; [unrolled: 1-line block ×3, first 2 shown]
	v_and_or_b32 v0, 0xffffff1d, v0, 34
	v_mov_b32_e32 v3, v2
	v_readfirstlane_b32 s6, v6
	v_readfirstlane_b32 s7, v7
	v_dual_mov_b32 v13, s11 :: v_dual_mov_b32 v10, s8
	v_dual_mov_b32 v12, s10 :: v_dual_mov_b32 v11, s9
	s_clause 0x3
	global_store_b128 v28, v[0:3], s[6:7]
	global_store_b128 v28, v[10:13], s[6:7] offset:16
	global_store_b128 v28, v[10:13], s[6:7] offset:32
	;; [unrolled: 1-line block ×3, first 2 shown]
	s_and_saveexec_b32 s1, s0
	s_cbranch_execz .LBB8_149
; %bb.142:
	v_dual_mov_b32 v6, 0 :: v_dual_mov_b32 v11, s5
	v_mov_b32_e32 v10, s4
	s_clause 0x1
	global_load_b64 v[12:13], v6, s[2:3] offset:32 glc
	global_load_b64 v[0:1], v6, s[2:3] offset:40
	s_waitcnt vmcnt(0)
	v_readfirstlane_b32 s6, v0
	v_readfirstlane_b32 s7, v1
	s_delay_alu instid0(VALU_DEP_1) | instskip(NEXT) | instid1(SALU_CYCLE_1)
	s_and_b64 s[6:7], s[6:7], s[4:5]
	s_mul_i32 s7, s7, 24
	s_mul_hi_u32 s8, s6, 24
	s_mul_i32 s6, s6, 24
	s_add_i32 s8, s8, s7
	v_add_co_u32 v4, vcc_lo, v4, s6
	v_add_co_ci_u32_e32 v5, vcc_lo, s8, v5, vcc_lo
	s_mov_b32 s6, exec_lo
	global_store_b64 v[4:5], v[12:13], off
	s_waitcnt_vscnt null, 0x0
	global_atomic_cmpswap_b64 v[2:3], v6, v[10:13], s[2:3] offset:32 glc
	s_waitcnt vmcnt(0)
	v_cmpx_ne_u64_e64 v[2:3], v[12:13]
	s_cbranch_execz .LBB8_145
; %bb.143:
	s_mov_b32 s7, 0
.LBB8_144:                              ; =>This Inner Loop Header: Depth=1
	v_dual_mov_b32 v0, s4 :: v_dual_mov_b32 v1, s5
	s_sleep 1
	global_store_b64 v[4:5], v[2:3], off
	s_waitcnt_vscnt null, 0x0
	global_atomic_cmpswap_b64 v[0:1], v6, v[0:3], s[2:3] offset:32 glc
	s_waitcnt vmcnt(0)
	v_cmp_eq_u64_e32 vcc_lo, v[0:1], v[2:3]
	v_dual_mov_b32 v3, v1 :: v_dual_mov_b32 v2, v0
	s_or_b32 s7, vcc_lo, s7
	s_delay_alu instid0(SALU_CYCLE_1)
	s_and_not1_b32 exec_lo, exec_lo, s7
	s_cbranch_execnz .LBB8_144
.LBB8_145:
	s_or_b32 exec_lo, exec_lo, s6
	v_mov_b32_e32 v3, 0
	s_mov_b32 s7, exec_lo
	s_mov_b32 s6, exec_lo
	v_mbcnt_lo_u32_b32 v2, s7, 0
	global_load_b64 v[0:1], v3, s[2:3] offset:16
	v_cmpx_eq_u32_e32 0, v2
	s_cbranch_execz .LBB8_147
; %bb.146:
	s_bcnt1_i32_b32 s7, s7
	s_delay_alu instid0(SALU_CYCLE_1)
	v_mov_b32_e32 v2, s7
	s_waitcnt vmcnt(0)
	global_atomic_add_u64 v[0:1], v[2:3], off offset:8
.LBB8_147:
	s_or_b32 exec_lo, exec_lo, s6
	s_waitcnt vmcnt(0)
	global_load_b64 v[2:3], v[0:1], off offset:16
	s_waitcnt vmcnt(0)
	v_cmp_eq_u64_e32 vcc_lo, 0, v[2:3]
	s_cbranch_vccnz .LBB8_149
; %bb.148:
	global_load_b32 v0, v[0:1], off offset:24
	s_waitcnt vmcnt(0)
	v_dual_mov_b32 v1, 0 :: v_dual_and_b32 v4, 0xffffff, v0
	s_waitcnt_vscnt null, 0x0
	global_store_b64 v[2:3], v[0:1], off
	v_readfirstlane_b32 m0, v4
	s_sendmsg sendmsg(MSG_INTERRUPT)
.LBB8_149:
	s_or_b32 exec_lo, exec_lo, s1
	s_branch .LBB8_153
	.p2align	6
.LBB8_150:                              ;   in Loop: Header=BB8_153 Depth=1
	s_or_b32 exec_lo, exec_lo, s1
	s_delay_alu instid0(VALU_DEP_1) | instskip(NEXT) | instid1(VALU_DEP_1)
	v_readfirstlane_b32 s1, v0
	s_cmp_eq_u32 s1, 0
	s_cbranch_scc1 .LBB8_152
; %bb.151:                              ;   in Loop: Header=BB8_153 Depth=1
	s_sleep 1
	s_cbranch_execnz .LBB8_153
	s_branch .LBB8_155
.LBB8_152:
	s_branch .LBB8_155
.LBB8_153:                              ; =>This Inner Loop Header: Depth=1
	v_mov_b32_e32 v0, 1
	s_and_saveexec_b32 s1, s0
	s_cbranch_execz .LBB8_150
; %bb.154:                              ;   in Loop: Header=BB8_153 Depth=1
	global_load_b32 v0, v[8:9], off offset:20 glc
	s_waitcnt vmcnt(0)
	buffer_gl1_inv
	buffer_gl0_inv
	v_and_b32_e32 v0, 1, v0
	s_branch .LBB8_150
.LBB8_155:
	s_and_saveexec_b32 s1, s0
	s_cbranch_execz .LBB8_159
; %bb.156:
	v_mov_b32_e32 v6, 0
	s_clause 0x2
	global_load_b64 v[2:3], v6, s[2:3] offset:40
	global_load_b64 v[7:8], v6, s[2:3] offset:24 glc
	global_load_b64 v[4:5], v6, s[2:3]
	s_waitcnt vmcnt(2)
	v_add_co_u32 v9, vcc_lo, v2, 1
	v_add_co_ci_u32_e32 v10, vcc_lo, 0, v3, vcc_lo
	s_delay_alu instid0(VALU_DEP_2) | instskip(NEXT) | instid1(VALU_DEP_2)
	v_add_co_u32 v0, vcc_lo, v9, s4
	v_add_co_ci_u32_e32 v1, vcc_lo, s5, v10, vcc_lo
	s_delay_alu instid0(VALU_DEP_1) | instskip(SKIP_1) | instid1(VALU_DEP_1)
	v_cmp_eq_u64_e32 vcc_lo, 0, v[0:1]
	v_dual_cndmask_b32 v1, v1, v10 :: v_dual_cndmask_b32 v0, v0, v9
	v_and_b32_e32 v3, v1, v3
	s_delay_alu instid0(VALU_DEP_2) | instskip(NEXT) | instid1(VALU_DEP_2)
	v_and_b32_e32 v2, v0, v2
	v_mul_lo_u32 v3, v3, 24
	s_delay_alu instid0(VALU_DEP_2) | instskip(SKIP_1) | instid1(VALU_DEP_2)
	v_mul_hi_u32 v9, v2, 24
	v_mul_lo_u32 v2, v2, 24
	v_add_nc_u32_e32 v3, v9, v3
	s_waitcnt vmcnt(0)
	s_delay_alu instid0(VALU_DEP_2) | instskip(SKIP_1) | instid1(VALU_DEP_3)
	v_add_co_u32 v4, vcc_lo, v4, v2
	v_mov_b32_e32 v2, v7
	v_add_co_ci_u32_e32 v5, vcc_lo, v5, v3, vcc_lo
	v_mov_b32_e32 v3, v8
	global_store_b64 v[4:5], v[7:8], off
	s_waitcnt_vscnt null, 0x0
	global_atomic_cmpswap_b64 v[2:3], v6, v[0:3], s[2:3] offset:24 glc
	s_waitcnt vmcnt(0)
	v_cmp_ne_u64_e32 vcc_lo, v[2:3], v[7:8]
	s_and_b32 exec_lo, exec_lo, vcc_lo
	s_cbranch_execz .LBB8_159
; %bb.157:
	s_mov_b32 s0, 0
.LBB8_158:                              ; =>This Inner Loop Header: Depth=1
	s_sleep 1
	global_store_b64 v[4:5], v[2:3], off
	s_waitcnt_vscnt null, 0x0
	global_atomic_cmpswap_b64 v[7:8], v6, v[0:3], s[2:3] offset:24 glc
	s_waitcnt vmcnt(0)
	v_cmp_eq_u64_e32 vcc_lo, v[7:8], v[2:3]
	v_dual_mov_b32 v2, v7 :: v_dual_mov_b32 v3, v8
	s_or_b32 s0, vcc_lo, s0
	s_delay_alu instid0(SALU_CYCLE_1)
	s_and_not1_b32 exec_lo, exec_lo, s0
	s_cbranch_execnz .LBB8_158
.LBB8_159:
	s_or_b32 exec_lo, exec_lo, s1
.LBB8_160:
	s_add_u32 s8, s60, 0x58
	s_addc_u32 s9, s61, 0
	s_getpc_b64 s[0:1]
	s_add_u32 s0, s0, .str.29@rel32@lo+4
	s_addc_u32 s1, s1, .str.29@rel32@hi+12
	s_getpc_b64 s[2:3]
	s_add_u32 s2, s2, .str.19@rel32@lo+4
	s_addc_u32 s3, s3, .str.19@rel32@hi+12
	s_getpc_b64 s[4:5]
	s_add_u32 s4, s4, __PRETTY_FUNCTION__._ZN7VecsMemIjLi8192EE5fetchEi@rel32@lo+4
	s_addc_u32 s5, s5, __PRETTY_FUNCTION__._ZN7VecsMemIjLi8192EE5fetchEi@rel32@hi+12
	s_waitcnt vmcnt(0)
	v_dual_mov_b32 v0, s0 :: v_dual_mov_b32 v1, s1
	v_dual_mov_b32 v2, s2 :: v_dual_mov_b32 v3, s3
	;; [unrolled: 1-line block ×3, first 2 shown]
	v_mov_b32_e32 v6, s5
	s_getpc_b64 s[6:7]
	s_add_u32 s6, s6, __assert_fail@rel32@lo+4
	s_addc_u32 s7, s7, __assert_fail@rel32@hi+12
	s_delay_alu instid0(SALU_CYCLE_1)
	s_swappc_b64 s[30:31], s[6:7]
	s_or_b32 s0, s53, exec_lo
.LBB8_161:
	s_or_b32 exec_lo, exec_lo, s22
	s_delay_alu instid0(SALU_CYCLE_1) | instskip(SKIP_1) | instid1(SALU_CYCLE_1)
	s_and_not1_b32 s1, s53, exec_lo
	s_and_b32 s0, s0, exec_lo
	s_or_b32 s22, s1, s0
	s_or_not1_b32 s0, s21, exec_lo
.LBB8_162:
	s_or_b32 exec_lo, exec_lo, s20
	s_and_saveexec_b32 s20, s0
	s_cbranch_execz .LBB8_175
; %bb.163:
	s_mov_b32 s21, 0
	s_mov_b32 s23, s22
	s_mov_b32 s0, exec_lo
	v_cmpx_ne_u64_e32 0, v[43:44]
	s_xor_b32 s19, exec_lo, s0
	s_cbranch_execz .LBB8_172
; %bb.164:
	s_mov_b32 s2, 0
	s_mov_b32 s1, exec_lo
	v_cmpx_lt_i32_e32 0, v46
	s_cbranch_execz .LBB8_169
; %bb.165:
	ds_load_b64 v[0:1], v42 offset:8
	v_dual_mov_b32 v2, v43 :: v_dual_mov_b32 v3, v44
	v_mov_b32_e32 v4, v46
.LBB8_166:                              ; =>This Inner Loop Header: Depth=1
	s_waitcnt lgkmcnt(0)
	flat_load_b32 v5, v[0:1]
	v_add_nc_u32_e32 v4, -1, v4
	v_add_co_u32 v0, vcc_lo, v0, 4
	v_add_co_ci_u32_e32 v1, vcc_lo, 0, v1, vcc_lo
	s_delay_alu instid0(VALU_DEP_3) | instskip(SKIP_4) | instid1(VALU_DEP_1)
	v_cmp_eq_u32_e32 vcc_lo, 0, v4
	s_or_b32 s2, vcc_lo, s2
	s_waitcnt vmcnt(0) lgkmcnt(0)
	flat_store_b32 v[2:3], v5
	v_add_co_u32 v2, s0, v2, 4
	v_add_co_ci_u32_e64 v3, s0, 0, v3, s0
	s_and_not1_b32 exec_lo, exec_lo, s2
	s_cbranch_execnz .LBB8_166
; %bb.167:
	s_or_b32 exec_lo, exec_lo, s2
	v_add_nc_u32_e64 v0, 8, 4
	v_mov_b32_e32 v1, v46
	s_mov_b32 s2, 0
.LBB8_168:                              ; =>This Inner Loop Header: Depth=1
	flat_load_b32 v2, v[43:44]
	v_add_nc_u32_e32 v1, -1, v1
	v_add_co_u32 v43, vcc_lo, v43, 4
	v_add_co_ci_u32_e32 v44, vcc_lo, 0, v44, vcc_lo
	s_delay_alu instid0(VALU_DEP_3) | instskip(NEXT) | instid1(VALU_DEP_1)
	v_cmp_eq_u32_e64 s0, 0, v1
	s_or_b32 s2, s0, s2
	s_waitcnt vmcnt(0) lgkmcnt(0)
	scratch_store_b32 v0, v2, off
	v_add_nc_u32_e32 v0, 4, v0
	s_and_not1_b32 exec_lo, exec_lo, s2
	s_cbranch_execnz .LBB8_168
.LBB8_169:
	s_or_b32 exec_lo, exec_lo, s1
	scratch_load_b32 v0, off, off offset:8
	s_mov_b32 s0, -1
	s_mov_b32 s1, s22
	s_mov_b32 s2, exec_lo
	s_waitcnt vmcnt(0)
	v_cmpx_lt_i32_e64 v0, v46
	s_xor_b32 s21, exec_lo, s2
	s_cbranch_execz .LBB8_171
; %bb.170:
	s_add_u32 s8, s60, 0x58
	s_addc_u32 s9, s61, 0
	s_getpc_b64 s[0:1]
	s_add_u32 s0, s0, .str.18@rel32@lo+4
	s_addc_u32 s1, s1, .str.18@rel32@hi+12
	s_getpc_b64 s[2:3]
	s_add_u32 s2, s2, .str.19@rel32@lo+4
	s_addc_u32 s3, s3, .str.19@rel32@hi+12
	s_getpc_b64 s[4:5]
	s_add_u32 s4, s4, __PRETTY_FUNCTION__._ZN7VecsMemIjLi8192EE6shrinkEi@rel32@lo+4
	s_addc_u32 s5, s5, __PRETTY_FUNCTION__._ZN7VecsMemIjLi8192EE6shrinkEi@rel32@hi+12
	v_dual_mov_b32 v0, s0 :: v_dual_mov_b32 v1, s1
	v_dual_mov_b32 v2, s2 :: v_dual_mov_b32 v3, s3
	;; [unrolled: 1-line block ×3, first 2 shown]
	v_mov_b32_e32 v6, s5
	s_getpc_b64 s[6:7]
	s_add_u32 s6, s6, __assert_fail@rel32@lo+4
	s_addc_u32 s7, s7, __assert_fail@rel32@hi+12
	s_delay_alu instid0(SALU_CYCLE_1)
	s_swappc_b64 s[30:31], s[6:7]
	s_or_b32 s1, s22, exec_lo
	s_xor_b32 s0, exec_lo, -1
.LBB8_171:
	s_or_b32 exec_lo, exec_lo, s21
	s_delay_alu instid0(SALU_CYCLE_1)
	s_and_not1_b32 s2, s22, exec_lo
	s_and_b32 s1, s1, exec_lo
	s_and_b32 s21, s0, exec_lo
	s_or_b32 s23, s2, s1
.LBB8_172:
	s_and_not1_saveexec_b32 s19, s19
	s_cbranch_execz .LBB8_174
; %bb.173:
	s_add_u32 s8, s60, 0x58
	s_addc_u32 s9, s61, 0
	s_getpc_b64 s[0:1]
	s_add_u32 s0, s0, .str.17@rel32@lo+4
	s_addc_u32 s1, s1, .str.17@rel32@hi+12
	s_getpc_b64 s[2:3]
	s_add_u32 s2, s2, .str.16@rel32@lo+4
	s_addc_u32 s3, s3, .str.16@rel32@hi+12
	s_getpc_b64 s[4:5]
	s_add_u32 s4, s4, __PRETTY_FUNCTION__._ZN3sop10minatoIsopEPKjiP7VecsMemIjLi8192EE@rel32@lo+4
	s_addc_u32 s5, s5, __PRETTY_FUNCTION__._ZN3sop10minatoIsopEPKjiP7VecsMemIjLi8192EE@rel32@hi+12
	v_dual_mov_b32 v0, s0 :: v_dual_mov_b32 v1, s1
	v_dual_mov_b32 v2, s2 :: v_dual_mov_b32 v3, s3
	;; [unrolled: 1-line block ×3, first 2 shown]
	v_mov_b32_e32 v6, s5
	s_getpc_b64 s[6:7]
	s_add_u32 s6, s6, __assert_fail@rel32@lo+4
	s_addc_u32 s7, s7, __assert_fail@rel32@hi+12
	s_delay_alu instid0(SALU_CYCLE_1)
	s_swappc_b64 s[30:31], s[6:7]
	s_or_b32 s23, s23, exec_lo
.LBB8_174:
	s_or_b32 exec_lo, exec_lo, s19
	s_delay_alu instid0(SALU_CYCLE_1)
	s_and_not1_b32 s0, s22, exec_lo
	s_and_b32 s1, s23, exec_lo
	s_and_b32 s19, s21, exec_lo
	s_or_b32 s22, s0, s1
.LBB8_175:
	s_or_b32 exec_lo, exec_lo, s20
	s_delay_alu instid0(SALU_CYCLE_1)
	s_and_not1_b32 s0, s53, exec_lo
	s_and_b32 s1, s22, exec_lo
	s_and_not1_b32 s17, s17, exec_lo
	s_or_b32 s58, s0, s1
	s_and_b32 s0, s19, exec_lo
.LBB8_176:
	s_or_b32 exec_lo, exec_lo, s18
	s_and_saveexec_b32 s1, s17
	s_cbranch_execz .LBB8_178
; %bb.177:
	scratch_load_b32 v0, off, off offset:8
	s_and_not1_b32 s0, s0, exec_lo
	s_mov_b32 s57, exec_lo
	s_waitcnt vmcnt(0)
	v_cmp_ge_i32_e32 vcc_lo, v0, v46
	v_mov_b32_e32 v0, 0
	s_and_b32 s2, vcc_lo, exec_lo
	scratch_store_b32 off, v0, off offset:12
	s_or_b32 s0, s0, s2
.LBB8_178:
	s_or_b32 exec_lo, exec_lo, s1
	s_mov_b32 s1, 0
	s_mov_b32 s2, 0
	s_mov_b32 s3, 0
	s_and_saveexec_b32 s59, s0
	s_cbranch_execz .LBB8_403
; %bb.179:
	s_mov_b32 s76, s58
	scratch_store_b32 off, v46, off offset:8
	s_waitcnt_vscnt null, 0x0
	s_barrier
	buffer_gl0_inv
	s_mov_b32 s0, exec_lo
	v_cmpx_lt_i32_e32 15, v41
	s_xor_b32 s17, exec_lo, s0
	s_cbranch_execz .LBB8_181
; %bb.180:
	s_add_u32 s8, s60, 0x58
	s_addc_u32 s9, s61, 0
	s_getpc_b64 s[0:1]
	s_add_u32 s0, s0, .str.30@rel32@lo+4
	s_addc_u32 s1, s1, .str.30@rel32@hi+12
	s_getpc_b64 s[2:3]
	s_add_u32 s2, s2, .str.31@rel32@lo+4
	s_addc_u32 s3, s3, .str.31@rel32@hi+12
	s_getpc_b64 s[4:5]
	s_add_u32 s4, s4, __PRETTY_FUNCTION__._ZN3sop9sopFactorEPjiiPKiiP7VecsMemIjLi8192EEPN8subgUtil4SubgILi256EEE@rel32@lo+4
	s_addc_u32 s5, s5, __PRETTY_FUNCTION__._ZN3sop9sopFactorEPjiiPKiiP7VecsMemIjLi8192EEPN8subgUtil4SubgILi256EEE@rel32@hi+12
	v_dual_mov_b32 v0, s0 :: v_dual_mov_b32 v1, s1
	v_dual_mov_b32 v2, s2 :: v_dual_mov_b32 v3, s3
	;; [unrolled: 1-line block ×3, first 2 shown]
	v_mov_b32_e32 v6, s5
	s_getpc_b64 s[6:7]
	s_add_u32 s6, s6, __assert_fail@rel32@lo+4
	s_addc_u32 s7, s7, __assert_fail@rel32@hi+12
	s_delay_alu instid0(SALU_CYCLE_1)
	s_swappc_b64 s[30:31], s[6:7]
	s_or_b32 s76, s58, exec_lo
                                        ; implicit-def: $vgpr88_vgpr89
                                        ; implicit-def: $vgpr41
                                        ; implicit-def: $vgpr42
                                        ; implicit-def: $vgpr72
                                        ; implicit-def: $vgpr45
.LBB8_181:
	s_or_saveexec_b32 s77, s17
	s_mov_b32 s0, 0
	s_mov_b32 s1, 0
	;; [unrolled: 1-line block ×3, first 2 shown]
	s_xor_b32 exec_lo, exec_lo, s77
	s_cbranch_execz .LBB8_402
; %bb.182:
	scratch_load_b32 v46, off, off offset:8
	s_mov_b32 s0, 0x8010
	s_mov_b32 s78, 0
	scratch_store_b32 off, v41, s0
	s_mov_b32 s0, 0
	s_mov_b32 s79, 0
	s_mov_b32 s1, exec_lo
	s_waitcnt vmcnt(0)
	v_cmpx_lt_i32_e32 0, v46
	s_xor_b32 s1, exec_lo, s1
	s_cbranch_execnz .LBB8_186
; %bb.183:
	s_and_not1_saveexec_b32 s1, s1
	s_cbranch_execnz .LBB8_195
.LBB8_184:
	s_or_b32 exec_lo, exec_lo, s1
	s_mov_b32 s17, s76
	s_and_saveexec_b32 s86, s0
	s_cbranch_execnz .LBB8_196
.LBB8_185:
	s_or_b32 exec_lo, exec_lo, s86
	s_and_saveexec_b32 s0, s78
	s_cbranch_execnz .LBB8_367
	s_branch .LBB8_372
.LBB8_186:
	s_mov_b32 s0, -1
	s_mov_b32 s3, 0
	s_mov_b32 s2, exec_lo
	v_cmpx_eq_u32_e32 1, v46
	s_cbranch_execz .LBB8_194
; %bb.187:
	scratch_load_b32 v0, off, off offset:12
	s_waitcnt vmcnt(0)
	v_cmp_ne_u32_e32 vcc_lo, 0, v0
	v_cmp_eq_u32_e64 s0, 0, v0
	s_delay_alu instid0(VALU_DEP_1) | instskip(NEXT) | instid1(SALU_CYCLE_1)
	s_and_saveexec_b32 s4, s0
	s_xor_b32 s0, exec_lo, s4
	s_cbranch_execz .LBB8_193
; %bb.188:
	v_lshl_add_u32 v0, v41, 3, 0x8010
	v_add_nc_u32_e32 v1, 1, v41
	s_mov_b32 s3, 0x8010
	s_delay_alu instid0(VALU_DEP_2) | instskip(SKIP_2) | instid1(SALU_CYCLE_1)
	v_add_nc_u32_e32 v0, 8, v0
	scratch_store_b32 off, v1, s3
	s_and_saveexec_b32 s3, s63
	s_xor_b32 s3, exec_lo, s3
	s_cbranch_execz .LBB8_190
; %bb.189:
	v_mov_b32_e32 v1, 0
	s_delay_alu instid0(VALU_DEP_1)
	v_mov_b32_e32 v2, v1
	scratch_store_b64 v0, v[1:2], off
                                        ; implicit-def: $vgpr0
.LBB8_190:
	s_and_not1_saveexec_b32 s3, s3
	s_cbranch_execz .LBB8_192
; %bb.191:
	v_dual_mov_b32 v1, 3 :: v_dual_mov_b32 v2, 1
	scratch_store_b64 v0, v[1:2], off
.LBB8_192:
	s_or_b32 exec_lo, exec_lo, s3
	s_delay_alu instid0(SALU_CYCLE_1)
	s_mov_b32 s3, exec_lo
.LBB8_193:
	s_or_b32 exec_lo, exec_lo, s0
	s_delay_alu instid0(SALU_CYCLE_1)
	s_and_b32 s3, s3, exec_lo
	s_or_not1_b32 s0, vcc_lo, exec_lo
.LBB8_194:
	s_or_b32 exec_lo, exec_lo, s2
	s_delay_alu instid0(SALU_CYCLE_1)
	s_and_b32 s79, s3, exec_lo
	s_and_b32 s0, s0, exec_lo
	s_and_not1_saveexec_b32 s1, s1
	s_cbranch_execz .LBB8_184
.LBB8_195:
	v_cmp_ne_u32_e32 vcc_lo, 0, v46
	s_and_not1_b32 s0, s0, exec_lo
	s_mov_b32 s78, exec_lo
	s_and_b32 s2, vcc_lo, exec_lo
	s_delay_alu instid0(SALU_CYCLE_1)
	s_or_b32 s0, s0, s2
	s_or_b32 exec_lo, exec_lo, s1
	s_mov_b32 s17, s76
	s_and_saveexec_b32 s86, s0
	s_cbranch_execz .LBB8_185
.LBB8_196:
	v_dual_mov_b32 v0, 0 :: v_dual_mov_b32 v43, 0
	v_mov_b32_e32 v44, 0
	s_mov_b32 s0, -1
	s_mov_b32 s87, s76
	s_mov_b32 s17, exec_lo
	ds_store_b32 v42, v0 offset:16388
	v_cmpx_lt_i32_e32 0, v46
	s_cbranch_execz .LBB8_342
; %bb.197:
	v_mov_b32_e32 v43, 0
	v_mov_b32_e32 v44, 0
	s_mov_b32 s18, 0
	s_mov_b32 s0, exec_lo
	v_cmpx_gt_u32_e32 0x1001, v46
	s_xor_b32 s0, exec_lo, s0
	s_cbranch_execz .LBB8_199
; %bb.198:
	v_lshl_add_u32 v0, v46, 3, 8
	s_mov_b64 s[2:3], src_private_base
	s_delay_alu instid0(SALU_CYCLE_1) | instskip(SKIP_1) | instid1(VALU_DEP_1)
	v_dual_mov_b32 v44, s3 :: v_dual_lshlrev_b32 v1, 2, v46
	s_mov_b32 s18, exec_lo
	v_sub_nc_u32_e32 v0, v0, v1
	v_lshlrev_b32_e32 v1, 1, v46
	s_delay_alu instid0(VALU_DEP_2)
	v_add_nc_u32_e32 v43, 4, v0
	scratch_store_b32 off, v1, off offset:8
.LBB8_199:
	s_or_saveexec_b32 s19, s0
	s_mov_b32 s0, s76
	s_xor_b32 exec_lo, exec_lo, s19
	s_cbranch_execz .LBB8_341
; %bb.200:
	s_load_b64 s[2:3], s[80:81], 0x50
	v_mbcnt_lo_u32_b32 v29, -1, 0
	v_mov_b32_e32 v6, 0
	v_mov_b32_e32 v7, 0
	s_delay_alu instid0(VALU_DEP_3) | instskip(NEXT) | instid1(VALU_DEP_1)
	v_readfirstlane_b32 s0, v29
	v_cmp_eq_u32_e64 s0, s0, v29
	s_delay_alu instid0(VALU_DEP_1)
	s_and_saveexec_b32 s1, s0
	s_cbranch_execz .LBB8_206
; %bb.201:
	v_mov_b32_e32 v0, 0
	s_mov_b32 s4, exec_lo
	s_waitcnt lgkmcnt(0)
	global_load_b64 v[3:4], v0, s[2:3] offset:24 glc
	s_waitcnt vmcnt(0)
	buffer_gl1_inv
	buffer_gl0_inv
	s_clause 0x1
	global_load_b64 v[1:2], v0, s[2:3] offset:40
	global_load_b64 v[5:6], v0, s[2:3]
	s_waitcnt vmcnt(1)
	v_and_b32_e32 v1, v1, v3
	v_and_b32_e32 v2, v2, v4
	s_delay_alu instid0(VALU_DEP_2) | instskip(NEXT) | instid1(VALU_DEP_2)
	v_mul_hi_u32 v7, v1, 24
	v_mul_lo_u32 v2, v2, 24
	v_mul_lo_u32 v1, v1, 24
	s_delay_alu instid0(VALU_DEP_2) | instskip(SKIP_1) | instid1(VALU_DEP_2)
	v_add_nc_u32_e32 v2, v7, v2
	s_waitcnt vmcnt(0)
	v_add_co_u32 v1, vcc_lo, v5, v1
	s_delay_alu instid0(VALU_DEP_2)
	v_add_co_ci_u32_e32 v2, vcc_lo, v6, v2, vcc_lo
	global_load_b64 v[1:2], v[1:2], off glc
	s_waitcnt vmcnt(0)
	global_atomic_cmpswap_b64 v[6:7], v0, v[1:4], s[2:3] offset:24 glc
	s_waitcnt vmcnt(0)
	buffer_gl1_inv
	buffer_gl0_inv
	v_cmpx_ne_u64_e64 v[6:7], v[3:4]
	s_cbranch_execz .LBB8_205
; %bb.202:
	s_mov_b32 s5, 0
.LBB8_203:                              ; =>This Inner Loop Header: Depth=1
	s_sleep 1
	s_clause 0x1
	global_load_b64 v[1:2], v0, s[2:3] offset:40
	global_load_b64 v[8:9], v0, s[2:3]
	v_dual_mov_b32 v3, v6 :: v_dual_mov_b32 v4, v7
	s_waitcnt vmcnt(1)
	s_delay_alu instid0(VALU_DEP_1) | instskip(NEXT) | instid1(VALU_DEP_2)
	v_and_b32_e32 v1, v1, v3
	v_and_b32_e32 v2, v2, v4
	s_waitcnt vmcnt(0)
	s_delay_alu instid0(VALU_DEP_2) | instskip(NEXT) | instid1(VALU_DEP_1)
	v_mad_u64_u32 v[5:6], null, v1, 24, v[8:9]
	v_mov_b32_e32 v1, v6
	s_delay_alu instid0(VALU_DEP_1)
	v_mad_u64_u32 v[6:7], null, v2, 24, v[1:2]
	global_load_b64 v[1:2], v[5:6], off glc
	s_waitcnt vmcnt(0)
	global_atomic_cmpswap_b64 v[6:7], v0, v[1:4], s[2:3] offset:24 glc
	s_waitcnt vmcnt(0)
	buffer_gl1_inv
	buffer_gl0_inv
	v_cmp_eq_u64_e32 vcc_lo, v[6:7], v[3:4]
	s_or_b32 s5, vcc_lo, s5
	s_delay_alu instid0(SALU_CYCLE_1)
	s_and_not1_b32 exec_lo, exec_lo, s5
	s_cbranch_execnz .LBB8_203
; %bb.204:
	s_or_b32 exec_lo, exec_lo, s5
.LBB8_205:
	s_delay_alu instid0(SALU_CYCLE_1)
	s_or_b32 exec_lo, exec_lo, s4
.LBB8_206:
	s_delay_alu instid0(SALU_CYCLE_1)
	s_or_b32 exec_lo, exec_lo, s1
	v_mov_b32_e32 v5, 0
	v_readfirstlane_b32 s4, v6
	v_readfirstlane_b32 s5, v7
	s_mov_b32 s1, exec_lo
	s_waitcnt lgkmcnt(0)
	s_clause 0x1
	global_load_b64 v[8:9], v5, s[2:3] offset:40
	global_load_b128 v[0:3], v5, s[2:3]
	s_waitcnt vmcnt(1)
	v_readfirstlane_b32 s6, v8
	v_readfirstlane_b32 s7, v9
	s_delay_alu instid0(VALU_DEP_1) | instskip(NEXT) | instid1(SALU_CYCLE_1)
	s_and_b64 s[6:7], s[4:5], s[6:7]
	s_mul_i32 s8, s7, 24
	s_mul_hi_u32 s9, s6, 24
	s_mul_i32 s10, s6, 24
	s_add_i32 s9, s9, s8
	s_waitcnt vmcnt(0)
	v_add_co_u32 v8, vcc_lo, v0, s10
	v_add_co_ci_u32_e32 v9, vcc_lo, s9, v1, vcc_lo
	s_and_saveexec_b32 s8, s0
	s_cbranch_execz .LBB8_208
; %bb.207:
	v_dual_mov_b32 v4, s1 :: v_dual_mov_b32 v7, 1
	v_mov_b32_e32 v6, 2
	global_store_b128 v[8:9], v[4:7], off offset:8
.LBB8_208:
	s_or_b32 exec_lo, exec_lo, s8
	s_lshl_b64 s[6:7], s[6:7], 12
	v_dual_mov_b32 v7, v5 :: v_dual_lshlrev_b32 v28, 6, v29
	v_add_co_u32 v2, vcc_lo, v2, s6
	v_add_co_ci_u32_e32 v3, vcc_lo, s7, v3, vcc_lo
	s_mov_b32 s8, 0
	s_delay_alu instid0(VALU_DEP_2)
	v_add_co_u32 v10, vcc_lo, v2, v28
	s_mov_b32 s11, s8
	s_mov_b32 s9, s8
	;; [unrolled: 1-line block ×3, first 2 shown]
	v_dual_mov_b32 v4, 33 :: v_dual_mov_b32 v15, s11
	v_dual_mov_b32 v6, v5 :: v_dual_mov_b32 v13, s9
	v_readfirstlane_b32 s6, v2
	v_readfirstlane_b32 s7, v3
	v_add_co_ci_u32_e32 v11, vcc_lo, 0, v3, vcc_lo
	v_mov_b32_e32 v14, s10
	v_mov_b32_e32 v12, s8
	s_clause 0x3
	global_store_b128 v28, v[4:7], s[6:7]
	global_store_b128 v28, v[12:15], s[6:7] offset:16
	global_store_b128 v28, v[12:15], s[6:7] offset:32
	;; [unrolled: 1-line block ×3, first 2 shown]
	s_and_saveexec_b32 s1, s0
	s_cbranch_execz .LBB8_216
; %bb.209:
	v_mov_b32_e32 v6, 0
	s_mov_b32 s6, exec_lo
	s_clause 0x1
	global_load_b64 v[14:15], v6, s[2:3] offset:32 glc
	global_load_b64 v[2:3], v6, s[2:3] offset:40
	v_dual_mov_b32 v13, s5 :: v_dual_mov_b32 v12, s4
	s_waitcnt vmcnt(0)
	v_and_b32_e32 v3, s5, v3
	v_and_b32_e32 v2, s4, v2
	s_delay_alu instid0(VALU_DEP_2) | instskip(NEXT) | instid1(VALU_DEP_2)
	v_mul_lo_u32 v3, v3, 24
	v_mul_hi_u32 v4, v2, 24
	v_mul_lo_u32 v2, v2, 24
	s_delay_alu instid0(VALU_DEP_2) | instskip(NEXT) | instid1(VALU_DEP_2)
	v_add_nc_u32_e32 v3, v4, v3
	v_add_co_u32 v4, vcc_lo, v0, v2
	s_delay_alu instid0(VALU_DEP_2)
	v_add_co_ci_u32_e32 v5, vcc_lo, v1, v3, vcc_lo
	global_store_b64 v[4:5], v[14:15], off
	s_waitcnt_vscnt null, 0x0
	global_atomic_cmpswap_b64 v[2:3], v6, v[12:15], s[2:3] offset:32 glc
	s_waitcnt vmcnt(0)
	v_cmpx_ne_u64_e64 v[2:3], v[14:15]
	s_cbranch_execz .LBB8_212
; %bb.210:
	s_mov_b32 s7, 0
.LBB8_211:                              ; =>This Inner Loop Header: Depth=1
	v_dual_mov_b32 v0, s4 :: v_dual_mov_b32 v1, s5
	s_sleep 1
	global_store_b64 v[4:5], v[2:3], off
	s_waitcnt_vscnt null, 0x0
	global_atomic_cmpswap_b64 v[0:1], v6, v[0:3], s[2:3] offset:32 glc
	s_waitcnt vmcnt(0)
	v_cmp_eq_u64_e32 vcc_lo, v[0:1], v[2:3]
	v_dual_mov_b32 v3, v1 :: v_dual_mov_b32 v2, v0
	s_or_b32 s7, vcc_lo, s7
	s_delay_alu instid0(SALU_CYCLE_1)
	s_and_not1_b32 exec_lo, exec_lo, s7
	s_cbranch_execnz .LBB8_211
.LBB8_212:
	s_or_b32 exec_lo, exec_lo, s6
	v_mov_b32_e32 v3, 0
	s_mov_b32 s7, exec_lo
	s_mov_b32 s6, exec_lo
	v_mbcnt_lo_u32_b32 v2, s7, 0
	global_load_b64 v[0:1], v3, s[2:3] offset:16
	v_cmpx_eq_u32_e32 0, v2
	s_cbranch_execz .LBB8_214
; %bb.213:
	s_bcnt1_i32_b32 s7, s7
	s_delay_alu instid0(SALU_CYCLE_1)
	v_mov_b32_e32 v2, s7
	s_waitcnt vmcnt(0)
	global_atomic_add_u64 v[0:1], v[2:3], off offset:8
.LBB8_214:
	s_or_b32 exec_lo, exec_lo, s6
	s_waitcnt vmcnt(0)
	global_load_b64 v[2:3], v[0:1], off offset:16
	s_waitcnt vmcnt(0)
	v_cmp_eq_u64_e32 vcc_lo, 0, v[2:3]
	s_cbranch_vccnz .LBB8_216
; %bb.215:
	global_load_b32 v0, v[0:1], off offset:24
	s_waitcnt vmcnt(0)
	v_dual_mov_b32 v1, 0 :: v_dual_and_b32 v4, 0xffffff, v0
	s_waitcnt_vscnt null, 0x0
	global_store_b64 v[2:3], v[0:1], off
	v_readfirstlane_b32 m0, v4
	s_sendmsg sendmsg(MSG_INTERRUPT)
.LBB8_216:
	s_or_b32 exec_lo, exec_lo, s1
	s_branch .LBB8_220
.LBB8_217:                              ;   in Loop: Header=BB8_220 Depth=1
	s_or_b32 exec_lo, exec_lo, s1
	s_delay_alu instid0(VALU_DEP_1) | instskip(NEXT) | instid1(VALU_DEP_1)
	v_readfirstlane_b32 s1, v0
	s_cmp_eq_u32 s1, 0
	s_cbranch_scc1 .LBB8_219
; %bb.218:                              ;   in Loop: Header=BB8_220 Depth=1
	s_sleep 1
	s_cbranch_execnz .LBB8_220
	s_branch .LBB8_222
.LBB8_219:
	s_branch .LBB8_222
.LBB8_220:                              ; =>This Inner Loop Header: Depth=1
	v_mov_b32_e32 v0, 1
	s_and_saveexec_b32 s1, s0
	s_cbranch_execz .LBB8_217
; %bb.221:                              ;   in Loop: Header=BB8_220 Depth=1
	global_load_b32 v0, v[8:9], off offset:20 glc
	s_waitcnt vmcnt(0)
	buffer_gl1_inv
	buffer_gl0_inv
	v_and_b32_e32 v0, 1, v0
	s_branch .LBB8_217
.LBB8_222:
	global_load_b64 v[0:1], v[10:11], off
	s_and_saveexec_b32 s1, s0
	s_cbranch_execz .LBB8_226
; %bb.223:
	v_mov_b32_e32 v8, 0
	s_clause 0x2
	global_load_b64 v[4:5], v8, s[2:3] offset:40
	global_load_b64 v[9:10], v8, s[2:3] offset:24 glc
	global_load_b64 v[6:7], v8, s[2:3]
	s_waitcnt vmcnt(2)
	v_add_co_u32 v11, vcc_lo, v4, 1
	v_add_co_ci_u32_e32 v12, vcc_lo, 0, v5, vcc_lo
	s_delay_alu instid0(VALU_DEP_2) | instskip(NEXT) | instid1(VALU_DEP_2)
	v_add_co_u32 v2, vcc_lo, v11, s4
	v_add_co_ci_u32_e32 v3, vcc_lo, s5, v12, vcc_lo
	s_delay_alu instid0(VALU_DEP_1) | instskip(SKIP_1) | instid1(VALU_DEP_1)
	v_cmp_eq_u64_e32 vcc_lo, 0, v[2:3]
	v_dual_cndmask_b32 v3, v3, v12 :: v_dual_cndmask_b32 v2, v2, v11
	v_and_b32_e32 v5, v3, v5
	s_delay_alu instid0(VALU_DEP_2) | instskip(NEXT) | instid1(VALU_DEP_2)
	v_and_b32_e32 v4, v2, v4
	v_mul_lo_u32 v5, v5, 24
	s_delay_alu instid0(VALU_DEP_2) | instskip(SKIP_1) | instid1(VALU_DEP_2)
	v_mul_hi_u32 v11, v4, 24
	v_mul_lo_u32 v4, v4, 24
	v_add_nc_u32_e32 v5, v11, v5
	s_waitcnt vmcnt(0)
	s_delay_alu instid0(VALU_DEP_2) | instskip(SKIP_1) | instid1(VALU_DEP_3)
	v_add_co_u32 v6, vcc_lo, v6, v4
	v_mov_b32_e32 v4, v9
	v_add_co_ci_u32_e32 v7, vcc_lo, v7, v5, vcc_lo
	v_mov_b32_e32 v5, v10
	global_store_b64 v[6:7], v[9:10], off
	s_waitcnt_vscnt null, 0x0
	global_atomic_cmpswap_b64 v[4:5], v8, v[2:5], s[2:3] offset:24 glc
	s_waitcnt vmcnt(0)
	v_cmp_ne_u64_e32 vcc_lo, v[4:5], v[9:10]
	s_and_b32 exec_lo, exec_lo, vcc_lo
	s_cbranch_execz .LBB8_226
; %bb.224:
	s_mov_b32 s0, 0
.LBB8_225:                              ; =>This Inner Loop Header: Depth=1
	s_sleep 1
	global_store_b64 v[6:7], v[4:5], off
	s_waitcnt_vscnt null, 0x0
	global_atomic_cmpswap_b64 v[9:10], v8, v[2:5], s[2:3] offset:24 glc
	s_waitcnt vmcnt(0)
	v_cmp_eq_u64_e32 vcc_lo, v[9:10], v[4:5]
	v_dual_mov_b32 v4, v9 :: v_dual_mov_b32 v5, v10
	s_or_b32 s0, vcc_lo, s0
	s_delay_alu instid0(SALU_CYCLE_1)
	s_and_not1_b32 exec_lo, exec_lo, s0
	s_cbranch_execnz .LBB8_225
.LBB8_226:
	s_or_b32 exec_lo, exec_lo, s1
	s_getpc_b64 s[4:5]
	s_add_u32 s4, s4, .str.28@rel32@lo+4
	s_addc_u32 s5, s5, .str.28@rel32@hi+12
	s_delay_alu instid0(SALU_CYCLE_1)
	s_cmp_lg_u64 s[4:5], 0
	s_cbranch_scc0 .LBB8_311
; %bb.227:
	s_waitcnt vmcnt(0)
	v_dual_mov_b32 v7, v1 :: v_dual_and_b32 v6, -3, v0
	v_dual_mov_b32 v3, 0 :: v_dual_mov_b32 v4, 2
	v_mov_b32_e32 v5, 1
	s_mov_b64 s[6:7], 35
	s_branch .LBB8_229
.LBB8_228:                              ;   in Loop: Header=BB8_229 Depth=1
	s_or_b32 exec_lo, exec_lo, s1
	s_sub_u32 s6, s6, s8
	s_subb_u32 s7, s7, s9
	s_add_u32 s4, s4, s8
	s_addc_u32 s5, s5, s9
	s_cmp_lg_u64 s[6:7], 0
	s_cbranch_scc0 .LBB8_310
.LBB8_229:                              ; =>This Loop Header: Depth=1
                                        ;     Child Loop BB8_238 Depth 2
                                        ;     Child Loop BB8_234 Depth 2
	;; [unrolled: 1-line block ×11, first 2 shown]
	v_cmp_lt_u64_e64 s0, s[6:7], 56
	v_cmp_gt_u64_e64 s1, s[6:7], 7
                                        ; implicit-def: $sgpr14
	s_delay_alu instid0(VALU_DEP_2) | instskip(SKIP_2) | instid1(VALU_DEP_1)
	s_and_b32 s0, s0, exec_lo
	s_cselect_b32 s9, s7, 0
	s_cselect_b32 s8, s6, 56
	s_and_b32 vcc_lo, exec_lo, s1
	s_mov_b32 s0, -1
	s_cbranch_vccz .LBB8_236
; %bb.230:                              ;   in Loop: Header=BB8_229 Depth=1
	s_and_not1_b32 vcc_lo, exec_lo, s0
	s_mov_b64 s[0:1], s[4:5]
	s_cbranch_vccz .LBB8_240
.LBB8_231:                              ;   in Loop: Header=BB8_229 Depth=1
	s_cmp_gt_u32 s14, 7
	s_cbranch_scc1 .LBB8_241
.LBB8_232:                              ;   in Loop: Header=BB8_229 Depth=1
	v_mov_b32_e32 v10, 0
	v_mov_b32_e32 v11, 0
	s_cmp_eq_u32 s14, 0
	s_cbranch_scc1 .LBB8_235
; %bb.233:                              ;   in Loop: Header=BB8_229 Depth=1
	s_mov_b64 s[10:11], 0
	s_mov_b64 s[12:13], 0
.LBB8_234:                              ;   Parent Loop BB8_229 Depth=1
                                        ; =>  This Inner Loop Header: Depth=2
	s_delay_alu instid0(SALU_CYCLE_1)
	s_add_u32 s20, s0, s12
	s_addc_u32 s21, s1, s13
	s_add_u32 s12, s12, 1
	global_load_u8 v2, v3, s[20:21]
	s_addc_u32 s13, s13, 0
	s_waitcnt vmcnt(0)
	v_and_b32_e32 v2, 0xffff, v2
	s_delay_alu instid0(VALU_DEP_1) | instskip(SKIP_3) | instid1(VALU_DEP_1)
	v_lshlrev_b64 v[12:13], s10, v[2:3]
	s_add_u32 s10, s10, 8
	s_addc_u32 s11, s11, 0
	s_cmp_lg_u32 s14, s12
	v_or_b32_e32 v10, v12, v10
	s_delay_alu instid0(VALU_DEP_2)
	v_or_b32_e32 v11, v13, v11
	s_cbranch_scc1 .LBB8_234
.LBB8_235:                              ;   in Loop: Header=BB8_229 Depth=1
	s_mov_b32 s10, 0
	s_mov_b32 s15, 0
	s_branch .LBB8_242
.LBB8_236:                              ;   in Loop: Header=BB8_229 Depth=1
	s_waitcnt vmcnt(0)
	v_mov_b32_e32 v8, 0
	v_mov_b32_e32 v9, 0
	s_cmp_eq_u64 s[6:7], 0
	s_mov_b64 s[0:1], 0
	s_cbranch_scc1 .LBB8_239
; %bb.237:                              ;   in Loop: Header=BB8_229 Depth=1
	v_mov_b32_e32 v8, 0
	v_mov_b32_e32 v9, 0
	s_lshl_b64 s[10:11], s[8:9], 3
	s_mov_b64 s[12:13], s[4:5]
.LBB8_238:                              ;   Parent Loop BB8_229 Depth=1
                                        ; =>  This Inner Loop Header: Depth=2
	global_load_u8 v2, v3, s[12:13]
	s_waitcnt vmcnt(0)
	v_and_b32_e32 v2, 0xffff, v2
	s_delay_alu instid0(VALU_DEP_1)
	v_lshlrev_b64 v[10:11], s0, v[2:3]
	s_add_u32 s0, s0, 8
	s_addc_u32 s1, s1, 0
	s_add_u32 s12, s12, 1
	s_addc_u32 s13, s13, 0
	s_cmp_lg_u32 s10, s0
	v_or_b32_e32 v8, v10, v8
	v_or_b32_e32 v9, v11, v9
	s_cbranch_scc1 .LBB8_238
.LBB8_239:                              ;   in Loop: Header=BB8_229 Depth=1
	s_mov_b32 s14, 0
	s_mov_b64 s[0:1], s[4:5]
	s_cbranch_execnz .LBB8_231
.LBB8_240:                              ;   in Loop: Header=BB8_229 Depth=1
	global_load_b64 v[8:9], v3, s[4:5]
	s_add_i32 s14, s8, -8
	s_add_u32 s0, s4, 8
	s_addc_u32 s1, s5, 0
	s_cmp_gt_u32 s14, 7
	s_cbranch_scc0 .LBB8_232
.LBB8_241:                              ;   in Loop: Header=BB8_229 Depth=1
	s_mov_b32 s10, -1
                                        ; implicit-def: $vgpr10_vgpr11
                                        ; implicit-def: $sgpr15
.LBB8_242:                              ;   in Loop: Header=BB8_229 Depth=1
	s_delay_alu instid0(SALU_CYCLE_1)
	s_and_not1_b32 vcc_lo, exec_lo, s10
	s_cbranch_vccnz .LBB8_244
; %bb.243:                              ;   in Loop: Header=BB8_229 Depth=1
	global_load_b64 v[10:11], v3, s[0:1]
	s_add_i32 s15, s14, -8
	s_add_u32 s0, s0, 8
	s_addc_u32 s1, s1, 0
.LBB8_244:                              ;   in Loop: Header=BB8_229 Depth=1
	s_cmp_gt_u32 s15, 7
	s_cbranch_scc1 .LBB8_249
; %bb.245:                              ;   in Loop: Header=BB8_229 Depth=1
	v_mov_b32_e32 v12, 0
	v_mov_b32_e32 v13, 0
	s_cmp_eq_u32 s15, 0
	s_cbranch_scc1 .LBB8_248
; %bb.246:                              ;   in Loop: Header=BB8_229 Depth=1
	s_mov_b64 s[10:11], 0
	s_mov_b64 s[12:13], 0
.LBB8_247:                              ;   Parent Loop BB8_229 Depth=1
                                        ; =>  This Inner Loop Header: Depth=2
	s_delay_alu instid0(SALU_CYCLE_1)
	s_add_u32 s20, s0, s12
	s_addc_u32 s21, s1, s13
	s_add_u32 s12, s12, 1
	global_load_u8 v2, v3, s[20:21]
	s_addc_u32 s13, s13, 0
	s_waitcnt vmcnt(0)
	v_and_b32_e32 v2, 0xffff, v2
	s_delay_alu instid0(VALU_DEP_1) | instskip(SKIP_3) | instid1(VALU_DEP_1)
	v_lshlrev_b64 v[14:15], s10, v[2:3]
	s_add_u32 s10, s10, 8
	s_addc_u32 s11, s11, 0
	s_cmp_lg_u32 s15, s12
	v_or_b32_e32 v12, v14, v12
	s_delay_alu instid0(VALU_DEP_2)
	v_or_b32_e32 v13, v15, v13
	s_cbranch_scc1 .LBB8_247
.LBB8_248:                              ;   in Loop: Header=BB8_229 Depth=1
	s_mov_b32 s10, 0
	s_mov_b32 s14, 0
	s_branch .LBB8_250
.LBB8_249:                              ;   in Loop: Header=BB8_229 Depth=1
	s_mov_b32 s10, -1
                                        ; implicit-def: $sgpr14
.LBB8_250:                              ;   in Loop: Header=BB8_229 Depth=1
	s_delay_alu instid0(SALU_CYCLE_1)
	s_and_not1_b32 vcc_lo, exec_lo, s10
	s_cbranch_vccnz .LBB8_252
; %bb.251:                              ;   in Loop: Header=BB8_229 Depth=1
	global_load_b64 v[12:13], v3, s[0:1]
	s_add_i32 s14, s15, -8
	s_add_u32 s0, s0, 8
	s_addc_u32 s1, s1, 0
.LBB8_252:                              ;   in Loop: Header=BB8_229 Depth=1
	s_cmp_gt_u32 s14, 7
	s_cbranch_scc1 .LBB8_257
; %bb.253:                              ;   in Loop: Header=BB8_229 Depth=1
	v_mov_b32_e32 v14, 0
	v_mov_b32_e32 v15, 0
	s_cmp_eq_u32 s14, 0
	s_cbranch_scc1 .LBB8_256
; %bb.254:                              ;   in Loop: Header=BB8_229 Depth=1
	s_mov_b64 s[10:11], 0
	s_mov_b64 s[12:13], 0
.LBB8_255:                              ;   Parent Loop BB8_229 Depth=1
                                        ; =>  This Inner Loop Header: Depth=2
	s_delay_alu instid0(SALU_CYCLE_1)
	s_add_u32 s20, s0, s12
	s_addc_u32 s21, s1, s13
	s_add_u32 s12, s12, 1
	global_load_u8 v2, v3, s[20:21]
	s_addc_u32 s13, s13, 0
	s_waitcnt vmcnt(0)
	v_and_b32_e32 v2, 0xffff, v2
	s_delay_alu instid0(VALU_DEP_1) | instskip(SKIP_3) | instid1(VALU_DEP_1)
	v_lshlrev_b64 v[16:17], s10, v[2:3]
	s_add_u32 s10, s10, 8
	s_addc_u32 s11, s11, 0
	s_cmp_lg_u32 s14, s12
	v_or_b32_e32 v14, v16, v14
	s_delay_alu instid0(VALU_DEP_2)
	v_or_b32_e32 v15, v17, v15
	s_cbranch_scc1 .LBB8_255
.LBB8_256:                              ;   in Loop: Header=BB8_229 Depth=1
	s_mov_b32 s10, 0
	s_mov_b32 s15, 0
	s_branch .LBB8_258
.LBB8_257:                              ;   in Loop: Header=BB8_229 Depth=1
	s_mov_b32 s10, -1
                                        ; implicit-def: $vgpr14_vgpr15
                                        ; implicit-def: $sgpr15
.LBB8_258:                              ;   in Loop: Header=BB8_229 Depth=1
	s_delay_alu instid0(SALU_CYCLE_1)
	s_and_not1_b32 vcc_lo, exec_lo, s10
	s_cbranch_vccnz .LBB8_260
; %bb.259:                              ;   in Loop: Header=BB8_229 Depth=1
	global_load_b64 v[14:15], v3, s[0:1]
	s_add_i32 s15, s14, -8
	s_add_u32 s0, s0, 8
	s_addc_u32 s1, s1, 0
.LBB8_260:                              ;   in Loop: Header=BB8_229 Depth=1
	s_cmp_gt_u32 s15, 7
	s_cbranch_scc1 .LBB8_265
; %bb.261:                              ;   in Loop: Header=BB8_229 Depth=1
	v_mov_b32_e32 v16, 0
	v_mov_b32_e32 v17, 0
	s_cmp_eq_u32 s15, 0
	s_cbranch_scc1 .LBB8_264
; %bb.262:                              ;   in Loop: Header=BB8_229 Depth=1
	s_mov_b64 s[10:11], 0
	s_mov_b64 s[12:13], 0
.LBB8_263:                              ;   Parent Loop BB8_229 Depth=1
                                        ; =>  This Inner Loop Header: Depth=2
	s_delay_alu instid0(SALU_CYCLE_1)
	s_add_u32 s20, s0, s12
	s_addc_u32 s21, s1, s13
	s_add_u32 s12, s12, 1
	global_load_u8 v2, v3, s[20:21]
	s_addc_u32 s13, s13, 0
	s_waitcnt vmcnt(0)
	v_and_b32_e32 v2, 0xffff, v2
	s_delay_alu instid0(VALU_DEP_1) | instskip(SKIP_3) | instid1(VALU_DEP_1)
	v_lshlrev_b64 v[18:19], s10, v[2:3]
	s_add_u32 s10, s10, 8
	s_addc_u32 s11, s11, 0
	s_cmp_lg_u32 s15, s12
	v_or_b32_e32 v16, v18, v16
	s_delay_alu instid0(VALU_DEP_2)
	v_or_b32_e32 v17, v19, v17
	s_cbranch_scc1 .LBB8_263
.LBB8_264:                              ;   in Loop: Header=BB8_229 Depth=1
	s_mov_b32 s10, 0
	s_mov_b32 s14, 0
	s_branch .LBB8_266
.LBB8_265:                              ;   in Loop: Header=BB8_229 Depth=1
	s_mov_b32 s10, -1
                                        ; implicit-def: $sgpr14
.LBB8_266:                              ;   in Loop: Header=BB8_229 Depth=1
	s_delay_alu instid0(SALU_CYCLE_1)
	s_and_not1_b32 vcc_lo, exec_lo, s10
	s_cbranch_vccnz .LBB8_268
; %bb.267:                              ;   in Loop: Header=BB8_229 Depth=1
	global_load_b64 v[16:17], v3, s[0:1]
	s_add_i32 s14, s15, -8
	s_add_u32 s0, s0, 8
	s_addc_u32 s1, s1, 0
.LBB8_268:                              ;   in Loop: Header=BB8_229 Depth=1
	s_cmp_gt_u32 s14, 7
	s_cbranch_scc1 .LBB8_273
; %bb.269:                              ;   in Loop: Header=BB8_229 Depth=1
	v_mov_b32_e32 v18, 0
	v_mov_b32_e32 v19, 0
	s_cmp_eq_u32 s14, 0
	s_cbranch_scc1 .LBB8_272
; %bb.270:                              ;   in Loop: Header=BB8_229 Depth=1
	s_mov_b64 s[10:11], 0
	s_mov_b64 s[12:13], 0
.LBB8_271:                              ;   Parent Loop BB8_229 Depth=1
                                        ; =>  This Inner Loop Header: Depth=2
	s_delay_alu instid0(SALU_CYCLE_1)
	s_add_u32 s20, s0, s12
	s_addc_u32 s21, s1, s13
	s_add_u32 s12, s12, 1
	global_load_u8 v2, v3, s[20:21]
	s_addc_u32 s13, s13, 0
	s_waitcnt vmcnt(0)
	v_and_b32_e32 v2, 0xffff, v2
	s_delay_alu instid0(VALU_DEP_1) | instskip(SKIP_3) | instid1(VALU_DEP_1)
	v_lshlrev_b64 v[20:21], s10, v[2:3]
	s_add_u32 s10, s10, 8
	s_addc_u32 s11, s11, 0
	s_cmp_lg_u32 s14, s12
	v_or_b32_e32 v18, v20, v18
	s_delay_alu instid0(VALU_DEP_2)
	v_or_b32_e32 v19, v21, v19
	s_cbranch_scc1 .LBB8_271
.LBB8_272:                              ;   in Loop: Header=BB8_229 Depth=1
	s_mov_b32 s10, 0
	s_mov_b32 s15, 0
	s_branch .LBB8_274
.LBB8_273:                              ;   in Loop: Header=BB8_229 Depth=1
	s_mov_b32 s10, -1
                                        ; implicit-def: $vgpr18_vgpr19
                                        ; implicit-def: $sgpr15
.LBB8_274:                              ;   in Loop: Header=BB8_229 Depth=1
	s_delay_alu instid0(SALU_CYCLE_1)
	s_and_not1_b32 vcc_lo, exec_lo, s10
	s_cbranch_vccnz .LBB8_276
; %bb.275:                              ;   in Loop: Header=BB8_229 Depth=1
	global_load_b64 v[18:19], v3, s[0:1]
	s_add_i32 s15, s14, -8
	s_add_u32 s0, s0, 8
	s_addc_u32 s1, s1, 0
.LBB8_276:                              ;   in Loop: Header=BB8_229 Depth=1
	s_cmp_gt_u32 s15, 7
	s_cbranch_scc1 .LBB8_281
; %bb.277:                              ;   in Loop: Header=BB8_229 Depth=1
	v_mov_b32_e32 v20, 0
	v_mov_b32_e32 v21, 0
	s_cmp_eq_u32 s15, 0
	s_cbranch_scc1 .LBB8_280
; %bb.278:                              ;   in Loop: Header=BB8_229 Depth=1
	s_mov_b64 s[10:11], 0
	s_mov_b64 s[12:13], s[0:1]
.LBB8_279:                              ;   Parent Loop BB8_229 Depth=1
                                        ; =>  This Inner Loop Header: Depth=2
	global_load_u8 v2, v3, s[12:13]
	s_add_i32 s15, s15, -1
	s_waitcnt vmcnt(0)
	v_and_b32_e32 v2, 0xffff, v2
	s_delay_alu instid0(VALU_DEP_1)
	v_lshlrev_b64 v[22:23], s10, v[2:3]
	s_add_u32 s10, s10, 8
	s_addc_u32 s11, s11, 0
	s_add_u32 s12, s12, 1
	s_addc_u32 s13, s13, 0
	s_cmp_lg_u32 s15, 0
	v_or_b32_e32 v20, v22, v20
	v_or_b32_e32 v21, v23, v21
	s_cbranch_scc1 .LBB8_279
.LBB8_280:                              ;   in Loop: Header=BB8_229 Depth=1
	s_mov_b32 s10, 0
	s_branch .LBB8_282
.LBB8_281:                              ;   in Loop: Header=BB8_229 Depth=1
	s_mov_b32 s10, -1
.LBB8_282:                              ;   in Loop: Header=BB8_229 Depth=1
	s_delay_alu instid0(SALU_CYCLE_1)
	s_and_not1_b32 vcc_lo, exec_lo, s10
	s_cbranch_vccnz .LBB8_284
; %bb.283:                              ;   in Loop: Header=BB8_229 Depth=1
	global_load_b64 v[20:21], v3, s[0:1]
.LBB8_284:                              ;   in Loop: Header=BB8_229 Depth=1
	v_readfirstlane_b32 s0, v29
	v_mov_b32_e32 v26, 0
	v_mov_b32_e32 v27, 0
	s_delay_alu instid0(VALU_DEP_3) | instskip(NEXT) | instid1(VALU_DEP_1)
	v_cmp_eq_u32_e64 s0, s0, v29
	s_and_saveexec_b32 s1, s0
	s_cbranch_execz .LBB8_290
; %bb.285:                              ;   in Loop: Header=BB8_229 Depth=1
	global_load_b64 v[24:25], v3, s[2:3] offset:24 glc
	s_waitcnt vmcnt(0)
	buffer_gl1_inv
	buffer_gl0_inv
	s_clause 0x1
	global_load_b64 v[22:23], v3, s[2:3] offset:40
	global_load_b64 v[26:27], v3, s[2:3]
	s_mov_b32 s10, exec_lo
	s_waitcnt vmcnt(1)
	v_and_b32_e32 v2, v23, v25
	v_and_b32_e32 v22, v22, v24
	s_delay_alu instid0(VALU_DEP_2) | instskip(NEXT) | instid1(VALU_DEP_2)
	v_mul_lo_u32 v2, v2, 24
	v_mul_hi_u32 v23, v22, 24
	v_mul_lo_u32 v22, v22, 24
	s_delay_alu instid0(VALU_DEP_2) | instskip(SKIP_1) | instid1(VALU_DEP_2)
	v_add_nc_u32_e32 v2, v23, v2
	s_waitcnt vmcnt(0)
	v_add_co_u32 v22, vcc_lo, v26, v22
	s_delay_alu instid0(VALU_DEP_2)
	v_add_co_ci_u32_e32 v23, vcc_lo, v27, v2, vcc_lo
	global_load_b64 v[22:23], v[22:23], off glc
	s_waitcnt vmcnt(0)
	global_atomic_cmpswap_b64 v[26:27], v3, v[22:25], s[2:3] offset:24 glc
	s_waitcnt vmcnt(0)
	buffer_gl1_inv
	buffer_gl0_inv
	v_cmpx_ne_u64_e64 v[26:27], v[24:25]
	s_cbranch_execz .LBB8_289
; %bb.286:                              ;   in Loop: Header=BB8_229 Depth=1
	s_mov_b32 s11, 0
	.p2align	6
.LBB8_287:                              ;   Parent Loop BB8_229 Depth=1
                                        ; =>  This Inner Loop Header: Depth=2
	s_sleep 1
	s_clause 0x1
	global_load_b64 v[22:23], v3, s[2:3] offset:40
	global_load_b64 v[30:31], v3, s[2:3]
	v_dual_mov_b32 v24, v26 :: v_dual_mov_b32 v25, v27
	s_waitcnt vmcnt(1)
	s_delay_alu instid0(VALU_DEP_1) | instskip(SKIP_1) | instid1(VALU_DEP_1)
	v_and_b32_e32 v2, v22, v24
	s_waitcnt vmcnt(0)
	v_mad_u64_u32 v[26:27], null, v2, 24, v[30:31]
	v_and_b32_e32 v30, v23, v25
	s_delay_alu instid0(VALU_DEP_2) | instskip(NEXT) | instid1(VALU_DEP_1)
	v_mov_b32_e32 v2, v27
	v_mad_u64_u32 v[22:23], null, v30, 24, v[2:3]
	s_delay_alu instid0(VALU_DEP_1)
	v_mov_b32_e32 v27, v22
	global_load_b64 v[22:23], v[26:27], off glc
	s_waitcnt vmcnt(0)
	global_atomic_cmpswap_b64 v[26:27], v3, v[22:25], s[2:3] offset:24 glc
	s_waitcnt vmcnt(0)
	buffer_gl1_inv
	buffer_gl0_inv
	v_cmp_eq_u64_e32 vcc_lo, v[26:27], v[24:25]
	s_or_b32 s11, vcc_lo, s11
	s_delay_alu instid0(SALU_CYCLE_1)
	s_and_not1_b32 exec_lo, exec_lo, s11
	s_cbranch_execnz .LBB8_287
; %bb.288:                              ;   in Loop: Header=BB8_229 Depth=1
	s_or_b32 exec_lo, exec_lo, s11
.LBB8_289:                              ;   in Loop: Header=BB8_229 Depth=1
	s_delay_alu instid0(SALU_CYCLE_1)
	s_or_b32 exec_lo, exec_lo, s10
.LBB8_290:                              ;   in Loop: Header=BB8_229 Depth=1
	s_delay_alu instid0(SALU_CYCLE_1)
	s_or_b32 exec_lo, exec_lo, s1
	s_clause 0x1
	global_load_b64 v[30:31], v3, s[2:3] offset:40
	global_load_b128 v[22:25], v3, s[2:3]
	v_readfirstlane_b32 s10, v26
	v_readfirstlane_b32 s11, v27
	s_mov_b32 s1, exec_lo
	s_waitcnt vmcnt(1)
	v_readfirstlane_b32 s12, v30
	v_readfirstlane_b32 s13, v31
	s_delay_alu instid0(VALU_DEP_1) | instskip(NEXT) | instid1(SALU_CYCLE_1)
	s_and_b64 s[12:13], s[10:11], s[12:13]
	s_mul_i32 s14, s13, 24
	s_mul_hi_u32 s15, s12, 24
	s_mul_i32 s16, s12, 24
	s_add_i32 s15, s15, s14
	s_waitcnt vmcnt(0)
	v_add_co_u32 v26, vcc_lo, v22, s16
	v_add_co_ci_u32_e32 v27, vcc_lo, s15, v23, vcc_lo
	s_and_saveexec_b32 s14, s0
	s_cbranch_execz .LBB8_292
; %bb.291:                              ;   in Loop: Header=BB8_229 Depth=1
	v_mov_b32_e32 v2, s1
	global_store_b128 v[26:27], v[2:5], off offset:8
.LBB8_292:                              ;   in Loop: Header=BB8_229 Depth=1
	s_or_b32 exec_lo, exec_lo, s14
	s_lshl_b64 s[12:13], s[12:13], 12
	v_or_b32_e32 v2, 2, v6
	v_add_co_u32 v24, vcc_lo, v24, s12
	v_add_co_ci_u32_e32 v25, vcc_lo, s13, v25, vcc_lo
	v_cmp_gt_u64_e64 vcc_lo, s[6:7], 56
	s_lshl_b32 s1, s8, 2
	s_delay_alu instid0(VALU_DEP_3) | instskip(SKIP_4) | instid1(VALU_DEP_1)
	v_readfirstlane_b32 s12, v24
	s_add_i32 s1, s1, 28
	v_readfirstlane_b32 s13, v25
	s_and_b32 s1, s1, 0x1e0
	v_cndmask_b32_e32 v2, v2, v6, vcc_lo
	v_and_or_b32 v6, 0xffffff1f, v2, s1
	s_clause 0x3
	global_store_b128 v28, v[6:9], s[12:13]
	global_store_b128 v28, v[10:13], s[12:13] offset:16
	global_store_b128 v28, v[14:17], s[12:13] offset:32
	;; [unrolled: 1-line block ×3, first 2 shown]
	s_and_saveexec_b32 s1, s0
	s_cbranch_execz .LBB8_300
; %bb.293:                              ;   in Loop: Header=BB8_229 Depth=1
	s_clause 0x1
	global_load_b64 v[14:15], v3, s[2:3] offset:32 glc
	global_load_b64 v[6:7], v3, s[2:3] offset:40
	v_dual_mov_b32 v12, s10 :: v_dual_mov_b32 v13, s11
	s_waitcnt vmcnt(0)
	v_readfirstlane_b32 s12, v6
	v_readfirstlane_b32 s13, v7
	s_delay_alu instid0(VALU_DEP_1) | instskip(NEXT) | instid1(SALU_CYCLE_1)
	s_and_b64 s[12:13], s[12:13], s[10:11]
	s_mul_i32 s13, s13, 24
	s_mul_hi_u32 s14, s12, 24
	s_mul_i32 s12, s12, 24
	s_add_i32 s14, s14, s13
	v_add_co_u32 v10, vcc_lo, v22, s12
	v_add_co_ci_u32_e32 v11, vcc_lo, s14, v23, vcc_lo
	s_mov_b32 s12, exec_lo
	global_store_b64 v[10:11], v[14:15], off
	s_waitcnt_vscnt null, 0x0
	global_atomic_cmpswap_b64 v[8:9], v3, v[12:15], s[2:3] offset:32 glc
	s_waitcnt vmcnt(0)
	v_cmpx_ne_u64_e64 v[8:9], v[14:15]
	s_cbranch_execz .LBB8_296
; %bb.294:                              ;   in Loop: Header=BB8_229 Depth=1
	s_mov_b32 s13, 0
.LBB8_295:                              ;   Parent Loop BB8_229 Depth=1
                                        ; =>  This Inner Loop Header: Depth=2
	v_dual_mov_b32 v6, s10 :: v_dual_mov_b32 v7, s11
	s_sleep 1
	global_store_b64 v[10:11], v[8:9], off
	s_waitcnt_vscnt null, 0x0
	global_atomic_cmpswap_b64 v[6:7], v3, v[6:9], s[2:3] offset:32 glc
	s_waitcnt vmcnt(0)
	v_cmp_eq_u64_e32 vcc_lo, v[6:7], v[8:9]
	v_dual_mov_b32 v9, v7 :: v_dual_mov_b32 v8, v6
	s_or_b32 s13, vcc_lo, s13
	s_delay_alu instid0(SALU_CYCLE_1)
	s_and_not1_b32 exec_lo, exec_lo, s13
	s_cbranch_execnz .LBB8_295
.LBB8_296:                              ;   in Loop: Header=BB8_229 Depth=1
	s_or_b32 exec_lo, exec_lo, s12
	global_load_b64 v[6:7], v3, s[2:3] offset:16
	s_mov_b32 s13, exec_lo
	s_mov_b32 s12, exec_lo
	v_mbcnt_lo_u32_b32 v2, s13, 0
	s_delay_alu instid0(VALU_DEP_1)
	v_cmpx_eq_u32_e32 0, v2
	s_cbranch_execz .LBB8_298
; %bb.297:                              ;   in Loop: Header=BB8_229 Depth=1
	s_bcnt1_i32_b32 s13, s13
	s_delay_alu instid0(SALU_CYCLE_1)
	v_mov_b32_e32 v2, s13
	s_waitcnt vmcnt(0)
	global_atomic_add_u64 v[6:7], v[2:3], off offset:8
.LBB8_298:                              ;   in Loop: Header=BB8_229 Depth=1
	s_or_b32 exec_lo, exec_lo, s12
	s_waitcnt vmcnt(0)
	global_load_b64 v[8:9], v[6:7], off offset:16
	s_waitcnt vmcnt(0)
	v_cmp_eq_u64_e32 vcc_lo, 0, v[8:9]
	s_cbranch_vccnz .LBB8_300
; %bb.299:                              ;   in Loop: Header=BB8_229 Depth=1
	global_load_b32 v2, v[6:7], off offset:24
	s_waitcnt vmcnt(0)
	v_and_b32_e32 v6, 0xffffff, v2
	s_waitcnt_vscnt null, 0x0
	global_store_b64 v[8:9], v[2:3], off
	v_readfirstlane_b32 m0, v6
	s_sendmsg sendmsg(MSG_INTERRUPT)
.LBB8_300:                              ;   in Loop: Header=BB8_229 Depth=1
	s_or_b32 exec_lo, exec_lo, s1
	v_add_co_u32 v6, vcc_lo, v24, v28
	v_add_co_ci_u32_e32 v7, vcc_lo, 0, v25, vcc_lo
	s_branch .LBB8_304
	.p2align	6
.LBB8_301:                              ;   in Loop: Header=BB8_304 Depth=2
	s_or_b32 exec_lo, exec_lo, s1
	s_delay_alu instid0(VALU_DEP_1) | instskip(NEXT) | instid1(VALU_DEP_1)
	v_readfirstlane_b32 s1, v2
	s_cmp_eq_u32 s1, 0
	s_cbranch_scc1 .LBB8_303
; %bb.302:                              ;   in Loop: Header=BB8_304 Depth=2
	s_sleep 1
	s_cbranch_execnz .LBB8_304
	s_branch .LBB8_306
	.p2align	6
.LBB8_303:                              ;   in Loop: Header=BB8_229 Depth=1
	s_branch .LBB8_306
.LBB8_304:                              ;   Parent Loop BB8_229 Depth=1
                                        ; =>  This Inner Loop Header: Depth=2
	v_mov_b32_e32 v2, 1
	s_and_saveexec_b32 s1, s0
	s_cbranch_execz .LBB8_301
; %bb.305:                              ;   in Loop: Header=BB8_304 Depth=2
	global_load_b32 v2, v[26:27], off offset:20 glc
	s_waitcnt vmcnt(0)
	buffer_gl1_inv
	buffer_gl0_inv
	v_and_b32_e32 v2, 1, v2
	s_branch .LBB8_301
.LBB8_306:                              ;   in Loop: Header=BB8_229 Depth=1
	global_load_b128 v[6:9], v[6:7], off
	s_and_saveexec_b32 s1, s0
	s_cbranch_execz .LBB8_228
; %bb.307:                              ;   in Loop: Header=BB8_229 Depth=1
	s_clause 0x2
	global_load_b64 v[10:11], v3, s[2:3] offset:40
	global_load_b64 v[14:15], v3, s[2:3] offset:24 glc
	global_load_b64 v[12:13], v3, s[2:3]
	s_waitcnt vmcnt(2)
	v_add_co_u32 v2, vcc_lo, v10, 1
	v_add_co_ci_u32_e32 v16, vcc_lo, 0, v11, vcc_lo
	s_delay_alu instid0(VALU_DEP_2) | instskip(NEXT) | instid1(VALU_DEP_2)
	v_add_co_u32 v8, vcc_lo, v2, s10
	v_add_co_ci_u32_e32 v9, vcc_lo, s11, v16, vcc_lo
	s_delay_alu instid0(VALU_DEP_1) | instskip(SKIP_1) | instid1(VALU_DEP_1)
	v_cmp_eq_u64_e32 vcc_lo, 0, v[8:9]
	v_dual_cndmask_b32 v9, v9, v16 :: v_dual_cndmask_b32 v8, v8, v2
	v_and_b32_e32 v2, v9, v11
	s_delay_alu instid0(VALU_DEP_2) | instskip(NEXT) | instid1(VALU_DEP_2)
	v_and_b32_e32 v10, v8, v10
	v_mul_lo_u32 v2, v2, 24
	s_delay_alu instid0(VALU_DEP_2) | instskip(SKIP_1) | instid1(VALU_DEP_2)
	v_mul_hi_u32 v11, v10, 24
	v_mul_lo_u32 v10, v10, 24
	v_add_nc_u32_e32 v2, v11, v2
	s_waitcnt vmcnt(1)
	v_mov_b32_e32 v11, v15
	s_waitcnt vmcnt(0)
	s_delay_alu instid0(VALU_DEP_3)
	v_add_co_u32 v12, vcc_lo, v12, v10
	v_mov_b32_e32 v10, v14
	v_add_co_ci_u32_e32 v13, vcc_lo, v13, v2, vcc_lo
	global_store_b64 v[12:13], v[14:15], off
	s_waitcnt_vscnt null, 0x0
	global_atomic_cmpswap_b64 v[10:11], v3, v[8:11], s[2:3] offset:24 glc
	s_waitcnt vmcnt(0)
	v_cmp_ne_u64_e32 vcc_lo, v[10:11], v[14:15]
	s_and_b32 exec_lo, exec_lo, vcc_lo
	s_cbranch_execz .LBB8_228
; %bb.308:                              ;   in Loop: Header=BB8_229 Depth=1
	s_mov_b32 s0, 0
.LBB8_309:                              ;   Parent Loop BB8_229 Depth=1
                                        ; =>  This Inner Loop Header: Depth=2
	s_sleep 1
	global_store_b64 v[12:13], v[10:11], off
	s_waitcnt_vscnt null, 0x0
	global_atomic_cmpswap_b64 v[14:15], v3, v[8:11], s[2:3] offset:24 glc
	s_waitcnt vmcnt(0)
	v_cmp_eq_u64_e32 vcc_lo, v[14:15], v[10:11]
	v_dual_mov_b32 v10, v14 :: v_dual_mov_b32 v11, v15
	s_or_b32 s0, vcc_lo, s0
	s_delay_alu instid0(SALU_CYCLE_1)
	s_and_not1_b32 exec_lo, exec_lo, s0
	s_cbranch_execnz .LBB8_309
	s_branch .LBB8_228
.LBB8_310:
	s_mov_b32 s0, 0
	s_branch .LBB8_312
.LBB8_311:
	s_mov_b32 s0, -1
.LBB8_312:
	s_delay_alu instid0(SALU_CYCLE_1)
	s_and_b32 vcc_lo, exec_lo, s0
	s_cbranch_vccz .LBB8_340
; %bb.313:
	v_readfirstlane_b32 s0, v29
	s_waitcnt vmcnt(0)
	v_mov_b32_e32 v8, 0
	v_mov_b32_e32 v9, 0
	s_delay_alu instid0(VALU_DEP_3) | instskip(NEXT) | instid1(VALU_DEP_1)
	v_cmp_eq_u32_e64 s0, s0, v29
	s_and_saveexec_b32 s1, s0
	s_cbranch_execz .LBB8_319
; %bb.314:
	v_mov_b32_e32 v2, 0
	s_mov_b32 s4, exec_lo
	global_load_b64 v[5:6], v2, s[2:3] offset:24 glc
	s_waitcnt vmcnt(0)
	buffer_gl1_inv
	buffer_gl0_inv
	s_clause 0x1
	global_load_b64 v[3:4], v2, s[2:3] offset:40
	global_load_b64 v[7:8], v2, s[2:3]
	s_waitcnt vmcnt(1)
	v_and_b32_e32 v3, v3, v5
	v_and_b32_e32 v4, v4, v6
	s_delay_alu instid0(VALU_DEP_2) | instskip(NEXT) | instid1(VALU_DEP_2)
	v_mul_hi_u32 v9, v3, 24
	v_mul_lo_u32 v4, v4, 24
	v_mul_lo_u32 v3, v3, 24
	s_delay_alu instid0(VALU_DEP_2) | instskip(SKIP_1) | instid1(VALU_DEP_2)
	v_add_nc_u32_e32 v4, v9, v4
	s_waitcnt vmcnt(0)
	v_add_co_u32 v3, vcc_lo, v7, v3
	s_delay_alu instid0(VALU_DEP_2)
	v_add_co_ci_u32_e32 v4, vcc_lo, v8, v4, vcc_lo
	global_load_b64 v[3:4], v[3:4], off glc
	s_waitcnt vmcnt(0)
	global_atomic_cmpswap_b64 v[8:9], v2, v[3:6], s[2:3] offset:24 glc
	s_waitcnt vmcnt(0)
	buffer_gl1_inv
	buffer_gl0_inv
	v_cmpx_ne_u64_e64 v[8:9], v[5:6]
	s_cbranch_execz .LBB8_318
; %bb.315:
	s_mov_b32 s5, 0
.LBB8_316:                              ; =>This Inner Loop Header: Depth=1
	s_sleep 1
	s_clause 0x1
	global_load_b64 v[3:4], v2, s[2:3] offset:40
	global_load_b64 v[10:11], v2, s[2:3]
	v_dual_mov_b32 v5, v8 :: v_dual_mov_b32 v6, v9
	s_waitcnt vmcnt(1)
	s_delay_alu instid0(VALU_DEP_1) | instskip(NEXT) | instid1(VALU_DEP_2)
	v_and_b32_e32 v3, v3, v5
	v_and_b32_e32 v4, v4, v6
	s_waitcnt vmcnt(0)
	s_delay_alu instid0(VALU_DEP_2) | instskip(NEXT) | instid1(VALU_DEP_1)
	v_mad_u64_u32 v[7:8], null, v3, 24, v[10:11]
	v_mov_b32_e32 v3, v8
	s_delay_alu instid0(VALU_DEP_1)
	v_mad_u64_u32 v[8:9], null, v4, 24, v[3:4]
	global_load_b64 v[3:4], v[7:8], off glc
	s_waitcnt vmcnt(0)
	global_atomic_cmpswap_b64 v[8:9], v2, v[3:6], s[2:3] offset:24 glc
	s_waitcnt vmcnt(0)
	buffer_gl1_inv
	buffer_gl0_inv
	v_cmp_eq_u64_e32 vcc_lo, v[8:9], v[5:6]
	s_or_b32 s5, vcc_lo, s5
	s_delay_alu instid0(SALU_CYCLE_1)
	s_and_not1_b32 exec_lo, exec_lo, s5
	s_cbranch_execnz .LBB8_316
; %bb.317:
	s_or_b32 exec_lo, exec_lo, s5
.LBB8_318:
	s_delay_alu instid0(SALU_CYCLE_1)
	s_or_b32 exec_lo, exec_lo, s4
.LBB8_319:
	s_delay_alu instid0(SALU_CYCLE_1)
	s_or_b32 exec_lo, exec_lo, s1
	v_mov_b32_e32 v2, 0
	v_readfirstlane_b32 s4, v8
	v_readfirstlane_b32 s5, v9
	s_mov_b32 s1, exec_lo
	s_clause 0x1
	global_load_b64 v[10:11], v2, s[2:3] offset:40
	global_load_b128 v[4:7], v2, s[2:3]
	s_waitcnt vmcnt(1)
	v_readfirstlane_b32 s6, v10
	v_readfirstlane_b32 s7, v11
	s_delay_alu instid0(VALU_DEP_1) | instskip(NEXT) | instid1(SALU_CYCLE_1)
	s_and_b64 s[6:7], s[4:5], s[6:7]
	s_mul_i32 s8, s7, 24
	s_mul_hi_u32 s9, s6, 24
	s_mul_i32 s10, s6, 24
	s_add_i32 s9, s9, s8
	s_waitcnt vmcnt(0)
	v_add_co_u32 v8, vcc_lo, v4, s10
	v_add_co_ci_u32_e32 v9, vcc_lo, s9, v5, vcc_lo
	s_and_saveexec_b32 s8, s0
	s_cbranch_execz .LBB8_321
; %bb.320:
	v_dual_mov_b32 v10, s1 :: v_dual_mov_b32 v11, v2
	v_dual_mov_b32 v12, 2 :: v_dual_mov_b32 v13, 1
	global_store_b128 v[8:9], v[10:13], off offset:8
.LBB8_321:
	s_or_b32 exec_lo, exec_lo, s8
	s_lshl_b64 s[6:7], s[6:7], 12
	s_mov_b32 s8, 0
	v_add_co_u32 v6, vcc_lo, v6, s6
	v_add_co_ci_u32_e32 v7, vcc_lo, s7, v7, vcc_lo
	s_mov_b32 s11, s8
	s_mov_b32 s9, s8
	;; [unrolled: 1-line block ×3, first 2 shown]
	v_and_or_b32 v0, 0xffffff1d, v0, 34
	v_mov_b32_e32 v3, v2
	v_readfirstlane_b32 s6, v6
	v_readfirstlane_b32 s7, v7
	v_dual_mov_b32 v13, s11 :: v_dual_mov_b32 v10, s8
	v_dual_mov_b32 v12, s10 :: v_dual_mov_b32 v11, s9
	s_clause 0x3
	global_store_b128 v28, v[0:3], s[6:7]
	global_store_b128 v28, v[10:13], s[6:7] offset:16
	global_store_b128 v28, v[10:13], s[6:7] offset:32
	;; [unrolled: 1-line block ×3, first 2 shown]
	s_and_saveexec_b32 s1, s0
	s_cbranch_execz .LBB8_329
; %bb.322:
	v_dual_mov_b32 v6, 0 :: v_dual_mov_b32 v11, s5
	v_mov_b32_e32 v10, s4
	s_clause 0x1
	global_load_b64 v[12:13], v6, s[2:3] offset:32 glc
	global_load_b64 v[0:1], v6, s[2:3] offset:40
	s_waitcnt vmcnt(0)
	v_readfirstlane_b32 s6, v0
	v_readfirstlane_b32 s7, v1
	s_delay_alu instid0(VALU_DEP_1) | instskip(NEXT) | instid1(SALU_CYCLE_1)
	s_and_b64 s[6:7], s[6:7], s[4:5]
	s_mul_i32 s7, s7, 24
	s_mul_hi_u32 s8, s6, 24
	s_mul_i32 s6, s6, 24
	s_add_i32 s8, s8, s7
	v_add_co_u32 v4, vcc_lo, v4, s6
	v_add_co_ci_u32_e32 v5, vcc_lo, s8, v5, vcc_lo
	s_mov_b32 s6, exec_lo
	global_store_b64 v[4:5], v[12:13], off
	s_waitcnt_vscnt null, 0x0
	global_atomic_cmpswap_b64 v[2:3], v6, v[10:13], s[2:3] offset:32 glc
	s_waitcnt vmcnt(0)
	v_cmpx_ne_u64_e64 v[2:3], v[12:13]
	s_cbranch_execz .LBB8_325
; %bb.323:
	s_mov_b32 s7, 0
.LBB8_324:                              ; =>This Inner Loop Header: Depth=1
	v_dual_mov_b32 v0, s4 :: v_dual_mov_b32 v1, s5
	s_sleep 1
	global_store_b64 v[4:5], v[2:3], off
	s_waitcnt_vscnt null, 0x0
	global_atomic_cmpswap_b64 v[0:1], v6, v[0:3], s[2:3] offset:32 glc
	s_waitcnt vmcnt(0)
	v_cmp_eq_u64_e32 vcc_lo, v[0:1], v[2:3]
	v_dual_mov_b32 v3, v1 :: v_dual_mov_b32 v2, v0
	s_or_b32 s7, vcc_lo, s7
	s_delay_alu instid0(SALU_CYCLE_1)
	s_and_not1_b32 exec_lo, exec_lo, s7
	s_cbranch_execnz .LBB8_324
.LBB8_325:
	s_or_b32 exec_lo, exec_lo, s6
	v_mov_b32_e32 v3, 0
	s_mov_b32 s7, exec_lo
	s_mov_b32 s6, exec_lo
	v_mbcnt_lo_u32_b32 v2, s7, 0
	global_load_b64 v[0:1], v3, s[2:3] offset:16
	v_cmpx_eq_u32_e32 0, v2
	s_cbranch_execz .LBB8_327
; %bb.326:
	s_bcnt1_i32_b32 s7, s7
	s_delay_alu instid0(SALU_CYCLE_1)
	v_mov_b32_e32 v2, s7
	s_waitcnt vmcnt(0)
	global_atomic_add_u64 v[0:1], v[2:3], off offset:8
.LBB8_327:
	s_or_b32 exec_lo, exec_lo, s6
	s_waitcnt vmcnt(0)
	global_load_b64 v[2:3], v[0:1], off offset:16
	s_waitcnt vmcnt(0)
	v_cmp_eq_u64_e32 vcc_lo, 0, v[2:3]
	s_cbranch_vccnz .LBB8_329
; %bb.328:
	global_load_b32 v0, v[0:1], off offset:24
	s_waitcnt vmcnt(0)
	v_dual_mov_b32 v1, 0 :: v_dual_and_b32 v4, 0xffffff, v0
	s_waitcnt_vscnt null, 0x0
	global_store_b64 v[2:3], v[0:1], off
	v_readfirstlane_b32 m0, v4
	s_sendmsg sendmsg(MSG_INTERRUPT)
.LBB8_329:
	s_or_b32 exec_lo, exec_lo, s1
	s_branch .LBB8_333
.LBB8_330:                              ;   in Loop: Header=BB8_333 Depth=1
	s_or_b32 exec_lo, exec_lo, s1
	s_delay_alu instid0(VALU_DEP_1) | instskip(NEXT) | instid1(VALU_DEP_1)
	v_readfirstlane_b32 s1, v0
	s_cmp_eq_u32 s1, 0
	s_cbranch_scc1 .LBB8_332
; %bb.331:                              ;   in Loop: Header=BB8_333 Depth=1
	s_sleep 1
	s_cbranch_execnz .LBB8_333
	s_branch .LBB8_335
.LBB8_332:
	s_branch .LBB8_335
.LBB8_333:                              ; =>This Inner Loop Header: Depth=1
	v_mov_b32_e32 v0, 1
	s_and_saveexec_b32 s1, s0
	s_cbranch_execz .LBB8_330
; %bb.334:                              ;   in Loop: Header=BB8_333 Depth=1
	global_load_b32 v0, v[8:9], off offset:20 glc
	s_waitcnt vmcnt(0)
	buffer_gl1_inv
	buffer_gl0_inv
	v_and_b32_e32 v0, 1, v0
	s_branch .LBB8_330
.LBB8_335:
	s_and_saveexec_b32 s1, s0
	s_cbranch_execz .LBB8_339
; %bb.336:
	v_mov_b32_e32 v6, 0
	s_clause 0x2
	global_load_b64 v[2:3], v6, s[2:3] offset:40
	global_load_b64 v[7:8], v6, s[2:3] offset:24 glc
	global_load_b64 v[4:5], v6, s[2:3]
	s_waitcnt vmcnt(2)
	v_add_co_u32 v9, vcc_lo, v2, 1
	v_add_co_ci_u32_e32 v10, vcc_lo, 0, v3, vcc_lo
	s_delay_alu instid0(VALU_DEP_2) | instskip(NEXT) | instid1(VALU_DEP_2)
	v_add_co_u32 v0, vcc_lo, v9, s4
	v_add_co_ci_u32_e32 v1, vcc_lo, s5, v10, vcc_lo
	s_delay_alu instid0(VALU_DEP_1) | instskip(SKIP_1) | instid1(VALU_DEP_1)
	v_cmp_eq_u64_e32 vcc_lo, 0, v[0:1]
	v_dual_cndmask_b32 v1, v1, v10 :: v_dual_cndmask_b32 v0, v0, v9
	v_and_b32_e32 v3, v1, v3
	s_delay_alu instid0(VALU_DEP_2) | instskip(NEXT) | instid1(VALU_DEP_2)
	v_and_b32_e32 v2, v0, v2
	v_mul_lo_u32 v3, v3, 24
	s_delay_alu instid0(VALU_DEP_2) | instskip(SKIP_1) | instid1(VALU_DEP_2)
	v_mul_hi_u32 v9, v2, 24
	v_mul_lo_u32 v2, v2, 24
	v_add_nc_u32_e32 v3, v9, v3
	s_waitcnt vmcnt(0)
	s_delay_alu instid0(VALU_DEP_2) | instskip(SKIP_1) | instid1(VALU_DEP_3)
	v_add_co_u32 v4, vcc_lo, v4, v2
	v_mov_b32_e32 v2, v7
	v_add_co_ci_u32_e32 v5, vcc_lo, v5, v3, vcc_lo
	v_mov_b32_e32 v3, v8
	global_store_b64 v[4:5], v[7:8], off
	s_waitcnt_vscnt null, 0x0
	global_atomic_cmpswap_b64 v[2:3], v6, v[0:3], s[2:3] offset:24 glc
	s_waitcnt vmcnt(0)
	v_cmp_ne_u64_e32 vcc_lo, v[2:3], v[7:8]
	s_and_b32 exec_lo, exec_lo, vcc_lo
	s_cbranch_execz .LBB8_339
; %bb.337:
	s_mov_b32 s0, 0
.LBB8_338:                              ; =>This Inner Loop Header: Depth=1
	s_sleep 1
	global_store_b64 v[4:5], v[2:3], off
	s_waitcnt_vscnt null, 0x0
	global_atomic_cmpswap_b64 v[7:8], v6, v[0:3], s[2:3] offset:24 glc
	s_waitcnt vmcnt(0)
	v_cmp_eq_u64_e32 vcc_lo, v[7:8], v[2:3]
	v_dual_mov_b32 v2, v7 :: v_dual_mov_b32 v3, v8
	s_or_b32 s0, vcc_lo, s0
	s_delay_alu instid0(SALU_CYCLE_1)
	s_and_not1_b32 exec_lo, exec_lo, s0
	s_cbranch_execnz .LBB8_338
.LBB8_339:
	s_or_b32 exec_lo, exec_lo, s1
.LBB8_340:
	s_add_u32 s8, s60, 0x58
	s_addc_u32 s9, s61, 0
	s_getpc_b64 s[0:1]
	s_add_u32 s0, s0, .str.29@rel32@lo+4
	s_addc_u32 s1, s1, .str.29@rel32@hi+12
	s_getpc_b64 s[2:3]
	s_add_u32 s2, s2, .str.19@rel32@lo+4
	s_addc_u32 s3, s3, .str.19@rel32@hi+12
	s_getpc_b64 s[4:5]
	s_add_u32 s4, s4, __PRETTY_FUNCTION__._ZN7VecsMemIjLi8192EE5fetchEi@rel32@lo+4
	s_addc_u32 s5, s5, __PRETTY_FUNCTION__._ZN7VecsMemIjLi8192EE5fetchEi@rel32@hi+12
	s_waitcnt vmcnt(0)
	v_dual_mov_b32 v0, s0 :: v_dual_mov_b32 v1, s1
	v_dual_mov_b32 v2, s2 :: v_dual_mov_b32 v3, s3
	;; [unrolled: 1-line block ×3, first 2 shown]
	v_mov_b32_e32 v6, s5
	s_getpc_b64 s[6:7]
	s_add_u32 s6, s6, __assert_fail@rel32@lo+4
	s_addc_u32 s7, s7, __assert_fail@rel32@hi+12
	s_delay_alu instid0(SALU_CYCLE_1)
	s_swappc_b64 s[30:31], s[6:7]
	s_or_b32 s0, s76, exec_lo
.LBB8_341:
	s_or_b32 exec_lo, exec_lo, s19
	s_delay_alu instid0(SALU_CYCLE_1) | instskip(SKIP_1) | instid1(SALU_CYCLE_1)
	s_and_not1_b32 s1, s76, exec_lo
	s_and_b32 s0, s0, exec_lo
	s_or_b32 s87, s1, s0
	s_or_not1_b32 s0, s18, exec_lo
.LBB8_342:
	s_or_b32 exec_lo, exec_lo, s17
	s_mov_b32 s1, s79
	s_and_saveexec_b32 s80, s0
	s_cbranch_execz .LBB8_366
; %bb.343:
	v_add_nc_u32_e32 v0, 0x4000, v42
	s_mov_b32 s2, 0
	s_mov_b32 s1, exec_lo
	ds_store_b64 v0, v[43:44] offset:8
	v_cmpx_lt_i32_e32 0, v46
	s_cbranch_execz .LBB8_347
; %bb.344:
	v_add_nc_u32_e64 v1, 8, 4
	v_mov_b32_e32 v2, v46
.LBB8_345:                              ; =>This Inner Loop Header: Depth=1
	scratch_load_b32 v3, v1, off
	v_add_nc_u32_e32 v2, -1, v2
	v_add_nc_u32_e32 v1, 4, v1
	s_delay_alu instid0(VALU_DEP_2) | instskip(SKIP_3) | instid1(VALU_DEP_1)
	v_cmp_eq_u32_e32 vcc_lo, 0, v2
	s_or_b32 s2, vcc_lo, s2
	s_waitcnt vmcnt(0)
	v_lshrrev_b32_e32 v4, 1, v3
	v_or_b32_e32 v4, v4, v3
	s_delay_alu instid0(VALU_DEP_1) | instskip(NEXT) | instid1(VALU_DEP_1)
	v_and_b32_e32 v4, 0x55555555, v4
	v_lshl_add_u32 v4, v4, 1, v4
	s_delay_alu instid0(VALU_DEP_1) | instskip(SKIP_2) | instid1(VALU_DEP_1)
	v_xor_b32_e32 v3, v4, v3
	flat_store_b32 v[43:44], v3
	v_add_co_u32 v43, s0, v43, 4
	v_add_co_ci_u32_e64 v44, s0, 0, v44, s0
	s_and_not1_b32 exec_lo, exec_lo, s2
	s_cbranch_execnz .LBB8_345
; %bb.346:
	s_or_b32 exec_lo, exec_lo, s2
	ds_store_b32 v0, v46 offset:4
.LBB8_347:
	s_or_b32 exec_lo, exec_lo, s1
	s_mov_b64 s[0:1], src_shared_base
	s_mov_b64 s[2:3], src_private_base
	v_dual_mov_b32 v1, s1 :: v_dual_lshlrev_b32 v2, 1, v41
	v_dual_mov_b32 v3, s66 :: v_dual_mov_b32 v4, s67
	v_dual_mov_b32 v5, 0x8010 :: v_dual_mov_b32 v6, s3
	s_add_u32 s8, s60, 0x58
	s_addc_u32 s9, s61, 0
	s_getpc_b64 s[4:5]
	s_add_u32 s4, s4, _ZN3sop12sopFactorRecEPNS_3SopEiP7VecsMemIjLi8192EEPN8subgUtil4SubgILi256EEE@rel32@lo+4
	s_addc_u32 s5, s5, _ZN3sop12sopFactorRecEPNS_3SopEiP7VecsMemIjLi8192EEPN8subgUtil4SubgILi256EEE@rel32@hi+12
	s_delay_alu instid0(SALU_CYCLE_1) | instskip(SKIP_4) | instid1(VALU_DEP_1)
	s_swappc_b64 s[30:31], s[4:5]
	v_ashrrev_i32_e32 v1, 1, v0
	s_mov_b32 s17, s79
	s_mov_b32 s18, s87
	s_mov_b32 s0, exec_lo
	v_cmpx_ge_i32_e64 v1, v41
	s_xor_b32 s19, exec_lo, s0
	s_cbranch_execz .LBB8_355
; %bb.348:
	s_mov_b32 s0, -1
	s_mov_b32 s1, s87
	s_and_saveexec_b32 s17, s62
	s_cbranch_execz .LBB8_354
; %bb.349:
	s_mov_b32 s0, 0x8010
	s_mov_b32 s18, 0
	scratch_load_b32 v0, off, s0
	s_waitcnt vmcnt(0)
	v_lshlrev_b32_e32 v0, 3, v0
	s_delay_alu instid0(VALU_DEP_1) | instskip(SKIP_4) | instid1(VALU_DEP_2)
	v_add3_u32 v2, 0x8010, 8, v0
	scratch_load_b64 v[0:1], v2, off offset:-8
	s_waitcnt vmcnt(0)
	v_lshrrev_b32_e32 v3, 1, v0
	v_cmp_lt_i64_e32 vcc_lo, -1, v[0:1]
	v_cmp_ge_i32_e64 s0, v3, v1
	s_delay_alu instid0(VALU_DEP_1) | instskip(NEXT) | instid1(SALU_CYCLE_1)
	s_and_b32 s0, vcc_lo, s0
	s_and_saveexec_b32 s1, s0
	s_delay_alu instid0(SALU_CYCLE_1)
	s_xor_b32 s0, exec_lo, s1
	s_cbranch_execz .LBB8_351
; %bb.350:
	v_xor_b32_e32 v0, 1, v0
	s_mov_b32 s18, exec_lo
	scratch_store_b64 v2, v[0:1], off offset:-8
.LBB8_351:
	s_or_saveexec_b32 s20, s0
	s_mov_b32 s0, s87
	s_xor_b32 exec_lo, exec_lo, s20
	s_cbranch_execz .LBB8_353
; %bb.352:
	s_add_u32 s8, s60, 0x58
	s_addc_u32 s9, s61, 0
	s_getpc_b64 s[0:1]
	s_add_u32 s0, s0, .str.46@rel32@lo+4
	s_addc_u32 s1, s1, .str.46@rel32@hi+12
	s_getpc_b64 s[2:3]
	s_add_u32 s2, s2, .str.44@rel32@lo+4
	s_addc_u32 s3, s3, .str.44@rel32@hi+12
	s_getpc_b64 s[4:5]
	s_add_u32 s4, s4, __PRETTY_FUNCTION__._ZN8subgUtil18formAndNodeKeyFlagEiii@rel32@lo+4
	s_addc_u32 s5, s5, __PRETTY_FUNCTION__._ZN8subgUtil18formAndNodeKeyFlagEiii@rel32@hi+12
	v_dual_mov_b32 v0, s0 :: v_dual_mov_b32 v1, s1
	v_dual_mov_b32 v2, s2 :: v_dual_mov_b32 v3, s3
	;; [unrolled: 1-line block ×3, first 2 shown]
	v_mov_b32_e32 v6, s5
	s_getpc_b64 s[6:7]
	s_add_u32 s6, s6, __assert_fail@rel32@lo+4
	s_addc_u32 s7, s7, __assert_fail@rel32@hi+12
	s_delay_alu instid0(SALU_CYCLE_1)
	s_swappc_b64 s[30:31], s[6:7]
	s_or_b32 s0, s87, exec_lo
.LBB8_353:
	s_or_b32 exec_lo, exec_lo, s20
	s_delay_alu instid0(SALU_CYCLE_1) | instskip(SKIP_1) | instid1(SALU_CYCLE_1)
	s_and_not1_b32 s1, s87, exec_lo
	s_and_b32 s0, s0, exec_lo
	s_or_b32 s1, s1, s0
	s_or_not1_b32 s0, s18, exec_lo
.LBB8_354:
	s_or_b32 exec_lo, exec_lo, s17
	s_delay_alu instid0(SALU_CYCLE_1)
	s_and_not1_b32 s2, s87, exec_lo
	s_and_b32 s1, s1, exec_lo
	s_and_not1_b32 s3, s79, exec_lo
	s_and_b32 s0, s0, exec_lo
	s_or_b32 s18, s2, s1
	s_or_b32 s17, s3, s0
                                        ; implicit-def: $vgpr1
                                        ; implicit-def: $vgpr0
.LBB8_355:
	s_and_not1_saveexec_b32 s19, s19
	s_cbranch_execz .LBB8_365
; %bb.356:
	s_mov_b32 s0, 0x8010
	s_mov_b32 s20, s18
	scratch_load_b32 v2, off, s0
	s_mov_b32 s0, exec_lo
	s_waitcnt vmcnt(0)
	v_cmpx_ne_u32_e64 v2, v41
	s_xor_b32 s21, exec_lo, s0
	s_cbranch_execz .LBB8_358
; %bb.357:
	s_add_u32 s8, s60, 0x58
	s_addc_u32 s9, s61, 0
	s_getpc_b64 s[0:1]
	s_add_u32 s0, s0, .str.32@rel32@lo+4
	s_addc_u32 s1, s1, .str.32@rel32@hi+12
	s_getpc_b64 s[2:3]
	s_add_u32 s2, s2, .str.31@rel32@lo+4
	s_addc_u32 s3, s3, .str.31@rel32@hi+12
	s_getpc_b64 s[4:5]
	s_add_u32 s4, s4, __PRETTY_FUNCTION__._ZN3sop9sopFactorEPjiiPKiiP7VecsMemIjLi8192EEPN8subgUtil4SubgILi256EEE@rel32@lo+4
	s_addc_u32 s5, s5, __PRETTY_FUNCTION__._ZN3sop9sopFactorEPjiiPKiiP7VecsMemIjLi8192EEPN8subgUtil4SubgILi256EEE@rel32@hi+12
	v_dual_mov_b32 v0, s0 :: v_dual_mov_b32 v1, s1
	v_dual_mov_b32 v2, s2 :: v_dual_mov_b32 v3, s3
	;; [unrolled: 1-line block ×3, first 2 shown]
	v_mov_b32_e32 v6, s5
	s_getpc_b64 s[6:7]
	s_add_u32 s6, s6, __assert_fail@rel32@lo+4
	s_addc_u32 s7, s7, __assert_fail@rel32@hi+12
	s_delay_alu instid0(SALU_CYCLE_1)
	s_swappc_b64 s[30:31], s[6:7]
	s_or_b32 s20, s18, exec_lo
                                        ; implicit-def: $vgpr1
                                        ; implicit-def: $vgpr0
.LBB8_358:
	s_or_saveexec_b32 s21, s21
	s_mov_b32 s0, s17
	s_xor_b32 exec_lo, exec_lo, s21
	s_cbranch_execz .LBB8_364
; %bb.359:
	v_ashrrev_i32_e32 v73, 31, v72
	v_ashrrev_i32_e32 v2, 31, v1
	s_mov_b32 s22, s17
	s_mov_b32 s0, exec_lo
	s_delay_alu instid0(VALU_DEP_2) | instskip(NEXT) | instid1(VALU_DEP_2)
	v_lshlrev_b64 v[3:4], 2, v[72:73]
	v_lshlrev_b64 v[1:2], 2, v[1:2]
	s_delay_alu instid0(VALU_DEP_2) | instskip(NEXT) | instid1(VALU_DEP_3)
	v_add_co_u32 v3, vcc_lo, s64, v3
	v_add_co_ci_u32_e32 v4, vcc_lo, s65, v4, vcc_lo
	s_delay_alu instid0(VALU_DEP_2) | instskip(NEXT) | instid1(VALU_DEP_2)
	v_add_co_u32 v1, vcc_lo, v3, v1
	v_add_co_ci_u32_e32 v2, vcc_lo, v4, v2, vcc_lo
	global_load_b32 v1, v[1:2], off
	s_waitcnt vmcnt(0)
	v_lshlrev_b32_e32 v1, 1, v1
	s_delay_alu instid0(VALU_DEP_1)
	v_cmpx_lt_i32_e32 -1, v1
	s_xor_b32 s0, exec_lo, s0
	s_cbranch_execz .LBB8_361
; %bb.360:
	v_and_b32_e32 v0, 1, v0
	v_lshlrev_b32_e32 v2, 3, v41
	v_add_nc_u32_e32 v3, 1, v41
	s_or_b32 s22, s17, exec_lo
	s_delay_alu instid0(VALU_DEP_3) | instskip(NEXT) | instid1(VALU_DEP_3)
	v_cmp_eq_u32_e32 vcc_lo, 1, v0
	v_add3_u32 v2, 0x8010, v2, 8
	s_xor_b32 s1, s62, vcc_lo
	s_delay_alu instid0(SALU_CYCLE_1) | instskip(SKIP_1) | instid1(VALU_DEP_1)
	v_cndmask_b32_e64 v0, 0, 1, s1
	s_mov_b32 s1, 0x8010
	v_or_b32_e32 v1, v1, v0
	s_delay_alu instid0(VALU_DEP_1)
	v_lshl_or_b32 v0, v1, 1, v0
	s_clause 0x1
	scratch_store_b32 off, v3, s1
	scratch_store_b64 v2, v[0:1], off
.LBB8_361:
	s_or_saveexec_b32 s23, s0
	s_mov_b32 s0, s20
	s_xor_b32 exec_lo, exec_lo, s23
	s_cbranch_execz .LBB8_363
; %bb.362:
	s_add_u32 s8, s60, 0x58
	s_addc_u32 s9, s61, 0
	s_getpc_b64 s[0:1]
	s_add_u32 s0, s0, .str.46@rel32@lo+4
	s_addc_u32 s1, s1, .str.46@rel32@hi+12
	s_getpc_b64 s[2:3]
	s_add_u32 s2, s2, .str.44@rel32@lo+4
	s_addc_u32 s3, s3, .str.44@rel32@hi+12
	s_getpc_b64 s[4:5]
	s_add_u32 s4, s4, __PRETTY_FUNCTION__._ZN8subgUtil18formAndNodeKeyFlagEiii@rel32@lo+4
	s_addc_u32 s5, s5, __PRETTY_FUNCTION__._ZN8subgUtil18formAndNodeKeyFlagEiii@rel32@hi+12
	v_dual_mov_b32 v0, s0 :: v_dual_mov_b32 v1, s1
	v_dual_mov_b32 v2, s2 :: v_dual_mov_b32 v3, s3
	;; [unrolled: 1-line block ×3, first 2 shown]
	v_mov_b32_e32 v6, s5
	s_getpc_b64 s[6:7]
	s_add_u32 s6, s6, __assert_fail@rel32@lo+4
	s_addc_u32 s7, s7, __assert_fail@rel32@hi+12
	s_delay_alu instid0(SALU_CYCLE_1)
	s_swappc_b64 s[30:31], s[6:7]
	s_or_b32 s0, s20, exec_lo
.LBB8_363:
	s_or_b32 exec_lo, exec_lo, s23
	s_delay_alu instid0(SALU_CYCLE_1)
	s_and_not1_b32 s1, s20, exec_lo
	s_and_b32 s0, s0, exec_lo
	s_and_not1_b32 s2, s17, exec_lo
	s_and_b32 s3, s22, exec_lo
	s_or_b32 s20, s1, s0
	s_or_b32 s0, s2, s3
.LBB8_364:
	s_or_b32 exec_lo, exec_lo, s21
	s_delay_alu instid0(SALU_CYCLE_1)
	s_and_not1_b32 s1, s18, exec_lo
	s_and_b32 s2, s20, exec_lo
	s_and_not1_b32 s3, s17, exec_lo
	s_and_b32 s0, s0, exec_lo
	s_or_b32 s18, s1, s2
	s_or_b32 s17, s3, s0
.LBB8_365:
	s_or_b32 exec_lo, exec_lo, s19
	s_delay_alu instid0(SALU_CYCLE_1)
	s_and_not1_b32 s0, s87, exec_lo
	s_and_b32 s1, s18, exec_lo
	s_and_not1_b32 s2, s79, exec_lo
	s_and_b32 s3, s17, exec_lo
	s_or_b32 s87, s0, s1
	s_or_b32 s1, s2, s3
.LBB8_366:
	s_or_b32 exec_lo, exec_lo, s80
	s_delay_alu instid0(SALU_CYCLE_1)
	s_and_not1_b32 s0, s76, exec_lo
	s_and_b32 s2, s87, exec_lo
	s_and_not1_b32 s3, s79, exec_lo
	s_and_b32 s1, s1, exec_lo
	s_or_b32 s17, s0, s2
	s_or_b32 s79, s3, s1
	s_and_not1_b32 s78, s78, exec_lo
	s_or_b32 exec_lo, exec_lo, s86
	s_and_saveexec_b32 s0, s78
	s_cbranch_execz .LBB8_372
.LBB8_367:
	v_add_nc_u32_e32 v1, 1, v41
	v_lshl_add_u32 v0, v41, 3, 0x8010
	s_mov_b32 s1, 0x8010
	scratch_store_b32 off, v1, s1
	s_and_saveexec_b32 s1, s63
	s_delay_alu instid0(SALU_CYCLE_1)
	s_xor_b32 s1, exec_lo, s1
	s_cbranch_execz .LBB8_369
; %bb.368:
	v_dual_mov_b32 v1, 1 :: v_dual_add_nc_u32 v2, 8, v0
	v_mov_b32_e32 v0, 3
	scratch_store_b64 v2, v[0:1], off
                                        ; implicit-def: $vgpr0
.LBB8_369:
	s_and_not1_saveexec_b32 s1, s1
	s_cbranch_execz .LBB8_371
; %bb.370:
	v_dual_mov_b32 v1, 0 :: v_dual_add_nc_u32 v0, 8, v0
	s_delay_alu instid0(VALU_DEP_1)
	v_mov_b32_e32 v2, v1
	scratch_store_b64 v0, v[1:2], off
.LBB8_371:
	s_or_b32 exec_lo, exec_lo, s1
	s_delay_alu instid0(SALU_CYCLE_1)
	s_or_b32 s79, s79, exec_lo
.LBB8_372:
	s_or_b32 exec_lo, exec_lo, s0
	s_mov_b32 s0, 0
	s_mov_b32 s1, 0
	;; [unrolled: 1-line block ×3, first 2 shown]
	s_and_saveexec_b32 s18, s79
	s_cbranch_execz .LBB8_401
; %bb.373:
	s_mov_b32 s0, 0x8010
	s_waitcnt lgkmcnt(0)
	s_waitcnt_vscnt null, 0x0
	s_barrier
	buffer_gl0_inv
	scratch_load_b32 v5, off, s0
	v_cndmask_b32_e64 v0, 0, 1, s62
	s_mov_b32 s19, s17
	s_mov_b32 s0, exec_lo
	s_delay_alu instid0(VALU_DEP_1) | instskip(NEXT) | instid1(VALU_DEP_1)
	v_lshl_or_b32 v0, v88, 1, v0
	v_ashrrev_i32_e32 v1, 31, v0
	s_delay_alu instid0(VALU_DEP_1) | instskip(NEXT) | instid1(VALU_DEP_1)
	v_lshlrev_b64 v[1:2], 2, v[0:1]
	v_add_co_u32 v3, vcc_lo, s72, v1
	s_delay_alu instid0(VALU_DEP_2)
	v_add_co_ci_u32_e32 v4, vcc_lo, s73, v2, vcc_lo
	s_waitcnt vmcnt(0)
	v_sub_nc_u32_e32 v6, v5, v41
	global_store_b32 v[3:4], v6, off
	v_cmpx_gt_i32_e32 1, v6
	s_xor_b32 s20, exec_lo, s0
	s_cbranch_execz .LBB8_375
; %bb.374:
	s_add_u32 s8, s60, 0x58
	s_addc_u32 s9, s61, 0
	s_getpc_b64 s[0:1]
	s_add_u32 s0, s0, .str.13@rel32@lo+4
	s_addc_u32 s1, s1, .str.13@rel32@hi+12
	s_getpc_b64 s[2:3]
	s_add_u32 s2, s2, .str.1@rel32@lo+4
	s_addc_u32 s3, s3, .str.1@rel32@hi+12
	s_getpc_b64 s[4:5]
	s_add_u32 s4, s4, __PRETTY_FUNCTION__._Z15factorFromTruthPKiS0_PyPiS2_S2_PKjS4_S0_S4_i@rel32@lo+4
	s_addc_u32 s5, s5, __PRETTY_FUNCTION__._Z15factorFromTruthPKiS0_PyPiS2_S2_PKjS4_S0_S4_i@rel32@hi+12
	v_dual_mov_b32 v0, s0 :: v_dual_mov_b32 v1, s1
	v_dual_mov_b32 v2, s2 :: v_dual_mov_b32 v3, s3
	;; [unrolled: 1-line block ×3, first 2 shown]
	v_mov_b32_e32 v6, s5
	s_getpc_b64 s[6:7]
	s_add_u32 s6, s6, __assert_fail@rel32@lo+4
	s_addc_u32 s7, s7, __assert_fail@rel32@hi+12
	s_delay_alu instid0(SALU_CYCLE_1)
	s_swappc_b64 s[30:31], s[6:7]
	s_or_b32 s19, s17, exec_lo
                                        ; implicit-def: $vgpr1_vgpr2
                                        ; implicit-def: $vgpr5
                                        ; implicit-def: $vgpr41
                                        ; implicit-def: $vgpr0
                                        ; implicit-def: $vgpr45
                                        ; implicit-def: $vgpr72
.LBB8_375:
	s_or_saveexec_b32 s20, s20
	s_mov_b32 s0, 0
	s_mov_b32 s1, 0
	;; [unrolled: 1-line block ×3, first 2 shown]
	s_xor_b32 exec_lo, exec_lo, s20
	s_cbranch_execz .LBB8_400
; %bb.376:
	v_add_co_u32 v1, vcc_lo, s70, v1
	v_add_co_ci_u32_e32 v2, vcc_lo, s71, v2, vcc_lo
	s_mov_b32 s1, s19
	s_mov_b32 s0, exec_lo
	global_load_b32 v3, v[1:2], off
	s_waitcnt vmcnt(0)
	v_cmpx_ne_u32_e32 -1, v3
	s_xor_b32 s21, exec_lo, s0
	s_cbranch_execz .LBB8_378
; %bb.377:
	s_add_u32 s8, s60, 0x58
	s_addc_u32 s9, s61, 0
	s_getpc_b64 s[0:1]
	s_add_u32 s0, s0, .str.11@rel32@lo+4
	s_addc_u32 s1, s1, .str.11@rel32@hi+12
	s_getpc_b64 s[2:3]
	s_add_u32 s2, s2, .str.1@rel32@lo+4
	s_addc_u32 s3, s3, .str.1@rel32@hi+12
	s_getpc_b64 s[4:5]
	s_add_u32 s4, s4, __PRETTY_FUNCTION__._Z15factorFromTruthPKiS0_PyPiS2_S2_PKjS4_S0_S4_i@rel32@lo+4
	s_addc_u32 s5, s5, __PRETTY_FUNCTION__._Z15factorFromTruthPKiS0_PyPiS2_S2_PKjS4_S0_S4_i@rel32@hi+12
	v_dual_mov_b32 v0, s0 :: v_dual_mov_b32 v1, s1
	v_dual_mov_b32 v2, s2 :: v_dual_mov_b32 v3, s3
	;; [unrolled: 1-line block ×3, first 2 shown]
	v_mov_b32_e32 v6, s5
	s_getpc_b64 s[6:7]
	s_add_u32 s6, s6, __assert_fail@rel32@lo+4
	s_addc_u32 s7, s7, __assert_fail@rel32@hi+12
	s_delay_alu instid0(SALU_CYCLE_1)
	s_swappc_b64 s[30:31], s[6:7]
	s_or_b32 s1, s19, exec_lo
                                        ; implicit-def: $vgpr1_vgpr2
                                        ; implicit-def: $vgpr5
                                        ; implicit-def: $vgpr41
                                        ; implicit-def: $vgpr0
                                        ; implicit-def: $vgpr45
                                        ; implicit-def: $vgpr72
.LBB8_378:
	s_or_saveexec_b32 s2, s21
	s_mov_b32 s0, 0
	s_mov_b32 s4, 0
	;; [unrolled: 1-line block ×3, first 2 shown]
	s_xor_b32 exec_lo, exec_lo, s2
	s_cbranch_execz .LBB8_399
; %bb.379:
	v_mov_b32_e32 v6, 0
	s_mov_b32 s6, -1
	s_mov_b32 s3, 0
	s_mov_b32 s4, exec_lo
	global_store_b32 v[1:2], v6, off
	v_cmpx_gt_i32_e64 v5, v41
	s_cbranch_execz .LBB8_396
; %bb.380:
	v_lshlrev_b32_e32 v1, 3, v45
	v_lshlrev_b32_e32 v2, 3, v72
	s_lshl_b32 s7, s85, 2
	s_mov_b32 s6, 0
	s_add_i32 s7, s7, -1
                                        ; implicit-def: $sgpr8
                                        ; implicit-def: $sgpr5
	s_delay_alu instid0(VALU_DEP_1) | instskip(NEXT) | instid1(VALU_DEP_1)
	v_sub_nc_u32_e32 v1, v1, v2
	v_add3_u32 v7, 0x8010, v1, 8
	s_branch .LBB8_382
.LBB8_381:                              ;   in Loop: Header=BB8_382 Depth=1
	s_or_b32 exec_lo, exec_lo, s11
	s_xor_b32 s9, s9, -1
	s_xor_b32 s10, s10, -1
	s_and_b32 s11, exec_lo, s13
	s_delay_alu instid0(SALU_CYCLE_1)
	s_or_b32 s6, s11, s6
	s_and_not1_b32 s5, s5, exec_lo
	s_and_b32 s9, s9, exec_lo
	s_and_not1_b32 s8, s8, exec_lo
	s_and_b32 s10, s10, exec_lo
	s_or_b32 s5, s5, s9
	s_or_b32 s8, s8, s10
	s_and_not1_b32 exec_lo, exec_lo, s6
	s_cbranch_execz .LBB8_393
.LBB8_382:                              ; =>This Inner Loop Header: Depth=1
	s_cmp_lg_u32 s0, 8
	s_cbranch_scc1 .LBB8_390
; %bb.383:                              ;   in Loop: Header=BB8_382 Depth=1
	s_mov_b32 s9, exec_lo
	s_mov_b32 s0, exec_lo
	v_mbcnt_lo_u32_b32 v1, s9, 0
                                        ; implicit-def: $vgpr2
	s_delay_alu instid0(VALU_DEP_1)
	v_cmpx_eq_u32_e32 0, v1
	s_cbranch_execz .LBB8_385
; %bb.384:                              ;   in Loop: Header=BB8_382 Depth=1
	s_bcnt1_i32_b32 s9, s9
	s_delay_alu instid0(SALU_CYCLE_1)
	v_mov_b32_e32 v2, s9
	global_atomic_add_u32 v2, v6, v2, s[74:75] glc
.LBB8_385:                              ;   in Loop: Header=BB8_382 Depth=1
	s_or_b32 exec_lo, exec_lo, s0
	s_waitcnt vmcnt(0)
	v_readfirstlane_b32 s0, v2
	s_mov_b32 s10, -1
	s_mov_b32 s12, 0
	s_mov_b32 s9, 0
	s_mov_b32 s11, exec_lo
	v_add_nc_u32_e32 v2, s0, v1
                                        ; implicit-def: $sgpr0
	s_delay_alu instid0(VALU_DEP_1)
	v_cmpx_gt_i32_e64 s7, v2
	s_cbranch_execz .LBB8_389
; %bb.386:                              ;   in Loop: Header=BB8_382 Depth=1
	v_ashrrev_i32_e32 v3, 31, v2
	s_mov_b32 s9, exec_lo
                                        ; implicit-def: $sgpr0
	s_delay_alu instid0(VALU_DEP_1) | instskip(NEXT) | instid1(VALU_DEP_1)
	v_lshlrev_b64 v[3:4], 2, v[2:3]
	v_add_co_u32 v3, vcc_lo, s70, v3
	s_delay_alu instid0(VALU_DEP_2)
	v_add_co_ci_u32_e32 v4, vcc_lo, s71, v4, vcc_lo
	global_load_b32 v1, v[3:4], off
	s_waitcnt vmcnt(0)
	v_cmpx_eq_u32_e32 -1, v1
; %bb.387:                              ;   in Loop: Header=BB8_382 Depth=1
	v_ashrrev_i32_e32 v1, 31, v0
	s_mov_b32 s12, exec_lo
	s_mov_b32 s0, 0
	s_delay_alu instid0(VALU_DEP_1) | instskip(NEXT) | instid1(VALU_DEP_1)
	v_lshlrev_b64 v[0:1], 2, v[0:1]
	v_add_co_u32 v0, vcc_lo, s70, v0
	s_delay_alu instid0(VALU_DEP_2)
	v_add_co_ci_u32_e32 v1, vcc_lo, s71, v1, vcc_lo
	s_clause 0x1
	global_store_b32 v[0:1], v2, off
	global_store_b32 v[3:4], v6, off
; %bb.388:                              ;   in Loop: Header=BB8_382 Depth=1
	s_or_b32 exec_lo, exec_lo, s9
	v_mov_b32_e32 v0, v2
	s_mov_b32 s9, exec_lo
	s_xor_b32 s10, exec_lo, -1
	s_and_b32 s12, s12, exec_lo
.LBB8_389:                              ;   in Loop: Header=BB8_382 Depth=1
	s_or_b32 exec_lo, exec_lo, s11
	s_branch .LBB8_391
.LBB8_390:                              ;   in Loop: Header=BB8_382 Depth=1
	s_mov_b32 s12, -1
                                        ; implicit-def: $sgpr10
                                        ; implicit-def: $sgpr9
.LBB8_391:                              ;   in Loop: Header=BB8_382 Depth=1
	s_mov_b32 s13, -1
	s_and_saveexec_b32 s11, s12
	s_cbranch_execz .LBB8_381
; %bb.392:                              ;   in Loop: Header=BB8_382 Depth=1
	scratch_load_b64 v[1:2], v7, off
	v_lshl_add_u32 v3, v0, 3, s0
	v_add_nc_u32_e32 v41, 1, v41
	s_add_i32 s12, s0, 1
	v_add_nc_u32_e32 v7, 8, v7
	s_and_not1_b32 s9, s9, exec_lo
	v_ashrrev_i32_e32 v4, 31, v3
	v_cmp_ge_i32_e32 vcc_lo, v41, v5
	s_and_not1_b32 s10, s10, exec_lo
	s_delay_alu instid0(VALU_DEP_2) | instskip(SKIP_1) | instid1(VALU_DEP_1)
	v_lshlrev_b64 v[3:4], 3, v[3:4]
	s_or_not1_b32 s13, vcc_lo, exec_lo
	v_add_co_u32 v3, s0, s68, v3
	s_delay_alu instid0(VALU_DEP_1)
	v_add_co_ci_u32_e64 v4, s0, s69, v4, s0
	s_mov_b32 s0, s12
	s_waitcnt vmcnt(0)
	global_store_b64 v[3:4], v[1:2], off
	s_branch .LBB8_381
.LBB8_393:
	s_or_b32 exec_lo, exec_lo, s6
	s_mov_b32 s6, 0
	s_mov_b32 s7, -1
	s_mov_b32 s0, 0
	s_and_saveexec_b32 s9, s8
	s_delay_alu instid0(SALU_CYCLE_1)
	s_xor_b32 s8, exec_lo, s9
; %bb.394:
	s_mov_b32 s0, exec_lo
	s_xor_b32 s7, exec_lo, -1
	s_and_b32 s6, s5, exec_lo
; %bb.395:
	s_or_b32 exec_lo, exec_lo, s8
	s_delay_alu instid0(SALU_CYCLE_1)
	s_and_b32 s5, s7, exec_lo
	s_and_b32 s0, s0, exec_lo
	s_or_not1_b32 s6, s6, exec_lo
.LBB8_396:
	s_or_b32 exec_lo, exec_lo, s4
	s_and_saveexec_b32 s4, s6
	s_cbranch_execz .LBB8_398
; %bb.397:
	s_mov_b32 s3, exec_lo
	s_and_not1_b32 s0, s0, exec_lo
	s_waitcnt_vscnt null, 0x0
	s_barrier
	buffer_gl0_inv
.LBB8_398:
	s_or_b32 exec_lo, exec_lo, s4
	s_delay_alu instid0(SALU_CYCLE_1)
	s_and_b32 s5, s5, exec_lo
	s_and_b32 s4, s0, exec_lo
	;; [unrolled: 1-line block ×3, first 2 shown]
.LBB8_399:
	s_or_b32 exec_lo, exec_lo, s2
	s_delay_alu instid0(SALU_CYCLE_1)
	s_and_not1_b32 s2, s19, exec_lo
	s_and_b32 s1, s1, exec_lo
	s_and_b32 s0, s0, exec_lo
	s_or_b32 s19, s2, s1
	s_and_b32 s2, s5, exec_lo
	s_and_b32 s1, s4, exec_lo
.LBB8_400:
	s_or_b32 exec_lo, exec_lo, s20
	s_delay_alu instid0(SALU_CYCLE_1)
	s_and_not1_b32 s3, s17, exec_lo
	s_and_b32 s4, s19, exec_lo
	s_and_b32 s2, s2, exec_lo
	s_or_b32 s17, s3, s4
	s_and_b32 s1, s1, exec_lo
	s_and_b32 s0, s0, exec_lo
.LBB8_401:
	s_or_b32 exec_lo, exec_lo, s18
	s_delay_alu instid0(SALU_CYCLE_1)
	s_and_not1_b32 s3, s76, exec_lo
	s_and_b32 s4, s17, exec_lo
	s_and_b32 s2, s2, exec_lo
	s_or_b32 s76, s3, s4
	s_and_b32 s1, s1, exec_lo
	s_and_b32 s0, s0, exec_lo
.LBB8_402:
	s_or_b32 exec_lo, exec_lo, s77
	s_delay_alu instid0(SALU_CYCLE_1)
	s_and_not1_b32 s3, s58, exec_lo
	s_and_b32 s4, s76, exec_lo
	s_and_not1_b32 s57, s57, exec_lo
	s_or_b32 s58, s3, s4
	s_and_b32 s3, s2, exec_lo
	s_and_b32 s2, s1, exec_lo
	;; [unrolled: 1-line block ×3, first 2 shown]
.LBB8_403:
	s_or_b32 exec_lo, exec_lo, s59
	s_delay_alu instid0(SALU_CYCLE_1)
	s_and_not1_b32 s0, s53, exec_lo
	s_and_b32 s4, s58, exec_lo
	s_and_b32 s3, s3, exec_lo
	s_or_b32 s53, s0, s4
	s_and_b32 s4, s57, exec_lo
	s_and_b32 s2, s2, exec_lo
	;; [unrolled: 1-line block ×3, first 2 shown]
.LBB8_404:
	s_or_b32 exec_lo, exec_lo, s56
	s_delay_alu instid0(SALU_CYCLE_1)
	s_and_not1_b32 s1, s83, exec_lo
	s_and_b32 s5, s53, exec_lo
	s_and_b32 s4, s4, exec_lo
	s_or_b32 s83, s1, s5
	s_and_b32 s3, s3, exec_lo
	s_and_b32 s2, s2, exec_lo
	s_and_b32 s20, s0, exec_lo
.LBB8_405:
	s_or_b32 exec_lo, exec_lo, s84
	s_delay_alu instid0(SALU_CYCLE_1)
	s_and_b32 s17, s83, exec_lo
	s_and_b32 s18, s4, exec_lo
	;; [unrolled: 1-line block ×4, first 2 shown]
	s_or_not1_b32 s3, s20, exec_lo
.LBB8_406:
	s_or_b32 exec_lo, exec_lo, s82
	s_and_saveexec_b32 s0, s3
	s_delay_alu instid0(SALU_CYCLE_1) | instskip(SKIP_1) | instid1(SALU_CYCLE_1)
	s_or_b32 exec_lo, exec_lo, s0
	s_and_saveexec_b32 s0, s2
	s_xor_b32 s20, exec_lo, s0
	s_cbranch_execnz .LBB8_411
; %bb.407:
	s_or_b32 exec_lo, exec_lo, s20
	s_and_saveexec_b32 s0, s19
	s_delay_alu instid0(SALU_CYCLE_1)
	s_xor_b32 s19, exec_lo, s0
	s_cbranch_execnz .LBB8_412
.LBB8_408:
	s_or_b32 exec_lo, exec_lo, s19
	s_and_saveexec_b32 s19, s18
	s_cbranch_execnz .LBB8_413
.LBB8_409:
	s_or_b32 exec_lo, exec_lo, s19
	s_and_saveexec_b32 s0, s17
	s_cbranch_execnz .LBB8_414
.LBB8_410:
	s_endpgm
.LBB8_411:
	s_add_u32 s8, s60, 0x58
	s_addc_u32 s9, s61, 0
	s_getpc_b64 s[0:1]
	s_add_u32 s0, s0, .str.11@rel32@lo+4
	s_addc_u32 s1, s1, .str.11@rel32@hi+12
	s_getpc_b64 s[2:3]
	s_add_u32 s2, s2, .str.1@rel32@lo+4
	s_addc_u32 s3, s3, .str.1@rel32@hi+12
	s_getpc_b64 s[4:5]
	s_add_u32 s4, s4, __PRETTY_FUNCTION__._Z15factorFromTruthPKiS0_PyPiS2_S2_PKjS4_S0_S4_i@rel32@lo+4
	s_addc_u32 s5, s5, __PRETTY_FUNCTION__._Z15factorFromTruthPKiS0_PyPiS2_S2_PKjS4_S0_S4_i@rel32@hi+12
	v_dual_mov_b32 v0, s0 :: v_dual_mov_b32 v1, s1
	v_dual_mov_b32 v2, s2 :: v_dual_mov_b32 v3, s3
	;; [unrolled: 1-line block ×3, first 2 shown]
	v_mov_b32_e32 v6, s5
	s_getpc_b64 s[6:7]
	s_add_u32 s6, s6, __assert_fail@rel32@lo+4
	s_addc_u32 s7, s7, __assert_fail@rel32@hi+12
	s_delay_alu instid0(SALU_CYCLE_1) | instskip(SKIP_3) | instid1(SALU_CYCLE_1)
	s_swappc_b64 s[30:31], s[6:7]
	s_or_b32 s17, s17, exec_lo
	s_or_b32 exec_lo, exec_lo, s20
	s_and_saveexec_b32 s0, s19
	s_xor_b32 s19, exec_lo, s0
	s_cbranch_execz .LBB8_408
.LBB8_412:
	s_add_u32 s8, s60, 0x58
	s_addc_u32 s9, s61, 0
	s_getpc_b64 s[0:1]
	s_add_u32 s0, s0, .str.14@rel32@lo+4
	s_addc_u32 s1, s1, .str.14@rel32@hi+12
	s_getpc_b64 s[2:3]
	s_add_u32 s2, s2, .str.1@rel32@lo+4
	s_addc_u32 s3, s3, .str.1@rel32@hi+12
	s_getpc_b64 s[4:5]
	s_add_u32 s4, s4, __PRETTY_FUNCTION__._Z15factorFromTruthPKiS0_PyPiS2_S2_PKjS4_S0_S4_i@rel32@lo+4
	s_addc_u32 s5, s5, __PRETTY_FUNCTION__._Z15factorFromTruthPKiS0_PyPiS2_S2_PKjS4_S0_S4_i@rel32@hi+12
	v_dual_mov_b32 v0, s0 :: v_dual_mov_b32 v1, s1
	v_dual_mov_b32 v2, s2 :: v_dual_mov_b32 v3, s3
	;; [unrolled: 1-line block ×3, first 2 shown]
	v_mov_b32_e32 v6, s5
	s_getpc_b64 s[6:7]
	s_add_u32 s6, s6, __assert_fail@rel32@lo+4
	s_addc_u32 s7, s7, __assert_fail@rel32@hi+12
	s_delay_alu instid0(SALU_CYCLE_1)
	s_swappc_b64 s[30:31], s[6:7]
	s_or_b32 s17, s17, exec_lo
	s_or_b32 exec_lo, exec_lo, s19
	s_and_saveexec_b32 s19, s18
	s_cbranch_execz .LBB8_409
.LBB8_413:
	s_add_u32 s8, s60, 0x58
	s_addc_u32 s9, s61, 0
	s_getpc_b64 s[0:1]
	s_add_u32 s0, s0, .str.18@rel32@lo+4
	s_addc_u32 s1, s1, .str.18@rel32@hi+12
	s_getpc_b64 s[2:3]
	s_add_u32 s2, s2, .str.19@rel32@lo+4
	s_addc_u32 s3, s3, .str.19@rel32@hi+12
	s_getpc_b64 s[4:5]
	s_add_u32 s4, s4, __PRETTY_FUNCTION__._ZN7VecsMemIjLi8192EE6shrinkEi@rel32@lo+4
	s_addc_u32 s5, s5, __PRETTY_FUNCTION__._ZN7VecsMemIjLi8192EE6shrinkEi@rel32@hi+12
	v_dual_mov_b32 v0, s0 :: v_dual_mov_b32 v1, s1
	v_dual_mov_b32 v2, s2 :: v_dual_mov_b32 v3, s3
	v_dual_mov_b32 v4, 20 :: v_dual_mov_b32 v5, s4
	v_mov_b32_e32 v6, s5
	s_getpc_b64 s[6:7]
	s_add_u32 s6, s6, __assert_fail@rel32@lo+4
	s_addc_u32 s7, s7, __assert_fail@rel32@hi+12
	s_delay_alu instid0(SALU_CYCLE_1)
	s_swappc_b64 s[30:31], s[6:7]
	s_or_b32 s17, s17, exec_lo
	s_or_b32 exec_lo, exec_lo, s19
	s_and_saveexec_b32 s0, s17
	s_cbranch_execz .LBB8_410
.LBB8_414:
	; divergent unreachable
	s_endpgm
	.section	.rodata,"a",@progbits
	.p2align	6, 0x0
	.amdhsa_kernel _Z15factorFromTruthPKiS0_PyPiS2_S2_PKjS4_S0_S4_i
		.amdhsa_group_segment_fixed_size 32768
		.amdhsa_private_segment_fixed_size 35184
		.amdhsa_kernarg_size 344
		.amdhsa_user_sgpr_count 15
		.amdhsa_user_sgpr_dispatch_ptr 1
		.amdhsa_user_sgpr_queue_ptr 0
		.amdhsa_user_sgpr_kernarg_segment_ptr 1
		.amdhsa_user_sgpr_dispatch_id 0
		.amdhsa_user_sgpr_private_segment_size 0
		.amdhsa_wavefront_size32 1
		.amdhsa_uses_dynamic_stack 1
		.amdhsa_enable_private_segment 1
		.amdhsa_system_sgpr_workgroup_id_x 1
		.amdhsa_system_sgpr_workgroup_id_y 0
		.amdhsa_system_sgpr_workgroup_id_z 0
		.amdhsa_system_sgpr_workgroup_info 0
		.amdhsa_system_vgpr_workitem_id 2
		.amdhsa_next_free_vgpr 90
		.amdhsa_next_free_sgpr 88
		.amdhsa_reserve_vcc 1
		.amdhsa_float_round_mode_32 0
		.amdhsa_float_round_mode_16_64 0
		.amdhsa_float_denorm_mode_32 3
		.amdhsa_float_denorm_mode_16_64 3
		.amdhsa_dx10_clamp 1
		.amdhsa_ieee_mode 1
		.amdhsa_fp16_overflow 0
		.amdhsa_workgroup_processor_mode 1
		.amdhsa_memory_ordered 1
		.amdhsa_forward_progress 0
		.amdhsa_shared_vgpr_count 0
		.amdhsa_exception_fp_ieee_invalid_op 0
		.amdhsa_exception_fp_denorm_src 0
		.amdhsa_exception_fp_ieee_div_zero 0
		.amdhsa_exception_fp_ieee_overflow 0
		.amdhsa_exception_fp_ieee_underflow 0
		.amdhsa_exception_fp_ieee_inexact 0
		.amdhsa_exception_int_div_zero 0
	.end_amdhsa_kernel
	.text
.Lfunc_end8:
	.size	_Z15factorFromTruthPKiS0_PyPiS2_S2_PKjS4_S0_S4_i, .Lfunc_end8-_Z15factorFromTruthPKiS0_PyPiS2_S2_PKjS4_S0_S4_i
                                        ; -- End function
	.section	.AMDGPU.csdata,"",@progbits
; Kernel info:
; codeLenInByte = 16724
; NumSgprs: 90
; NumVgprs: 90
; ScratchSize: 35184
; MemoryBound: 0
; FloatMode: 240
; IeeeMode: 1
; LDSByteSize: 32768 bytes/workgroup (compile time only)
; SGPRBlocks: 11
; VGPRBlocks: 11
; NumSGPRsForWavesPerEU: 90
; NumVGPRsForWavesPerEU: 90
; Occupancy: 16
; WaveLimiterHint : 1
; COMPUTE_PGM_RSRC2:SCRATCH_EN: 1
; COMPUTE_PGM_RSRC2:USER_SGPR: 15
; COMPUTE_PGM_RSRC2:TRAP_HANDLER: 0
; COMPUTE_PGM_RSRC2:TGID_X_EN: 1
; COMPUTE_PGM_RSRC2:TGID_Y_EN: 0
; COMPUTE_PGM_RSRC2:TGID_Z_EN: 0
; COMPUTE_PGM_RSRC2:TIDIG_COMP_CNT: 2
	.text
	.p2alignl 7, 3214868480
	.fill 96, 4, 3214868480
	.type	__const.__assert_fail.fmt,@object ; @__const.__assert_fail.fmt
	.section	.rodata.str1.16,"aMS",@progbits,1
	.p2align	4, 0x0
__const.__assert_fail.fmt:
	.asciz	"%s:%u: %s: Device-side assertion `%s' failed.\n"
	.size	__const.__assert_fail.fmt, 47

	.type	.str,@object                    ; @.str
	.section	.rodata.str1.1,"aMS",@progbits,1
.str:
	.asciz	"lit0 < lit1"
	.size	.str, 12

	.type	.str.1,@object                  ; @.str.1
.str.1:
	.asciz	"/root/src/amdgpu-assembly/repos/zjin-lcf__HeCBench/src/logic-rewrite-hip/refactor_core.cu"
	.size	.str.1, 90

	.type	__PRETTY_FUNCTION__._Z12evaluateSubgiPiPKiiiiS1_PKyPKjiPKN8subgUtil4SubgILi256EEE,@object ; @__PRETTY_FUNCTION__._Z12evaluateSubgiPiPKiiiiS1_PKyPKjiPKN8subgUtil4SubgILi256EEE
__PRETTY_FUNCTION__._Z12evaluateSubgiPiPKiiiiS1_PKyPKjiPKN8subgUtil4SubgILi256EEE:
	.asciz	"int evaluateSubg(int, int *, const int *, int, int, int, const int *, const uint64 *, const uint32 *, int, const subgUtil::Subg<SUBG_CAP> *)"
	.size	__PRETTY_FUNCTION__._Z12evaluateSubgiPiPKiiiiS1_PKyPKjiPKN8subgUtil4SubgILi256EEE, 141

	.type	.str.2,@object                  ; @.str.2
.str.2:
	.asciz	"id0 < i && id1 < i"
	.size	.str.2, 19

	.type	.str.7,@object                  ; @.str.7
.str.7:
	.asciz	"endIdx - startIdx == nWords"
	.size	.str.7, 28

	.type	__PRETTY_FUNCTION__._Z8resynCutPKiS0_S0_S0_PKyPKjiS0_PyPiS6_S6_PjS0_S4_ii,@object ; @__PRETTY_FUNCTION__._Z8resynCutPKiS0_S0_S0_PKyPKjiS0_PyPiS6_S6_PjS0_S4_ii
__PRETTY_FUNCTION__._Z8resynCutPKiS0_S0_S0_PKyPKjiS0_PyPiS6_S6_PjS0_S4_ii:
	.asciz	"void resynCut(const int *, const int *, const int *, const int *, const uint64 *, const uint32 *, int, const int *, uint64 *, int *, int *, int *, unsigned int *, const int *, const unsigned int *, int, int)"
	.size	__PRETTY_FUNCTION__._Z8resynCutPKiS0_S0_S0_PKyPKjiS0_PyPiS6_S6_PjS0_S4_ii, 208

	.type	.str.8,@object                  ; @.str.8
.str.8:
	.asciz	"vSubgLens[idx] > 0"
	.size	.str.8, 19

	.type	.str.9,@object                  ; @.str.9
.str.9:
	.asciz	"vSubgLinks[idx] == -1"
	.size	.str.9, 22

	.type	.str.10,@object                 ; @.str.10
.str.10:
	.asciz	"currRowIdx < 2 * nResyn - 1"
	.size	.str.10, 28

	.type	.str.11,@object                 ; @.str.11
.str.11:
	.asciz	"vSubgLinks[currRowIdx] == -1"
	.size	.str.11, 29

	.type	.str.12,@object                 ; @.str.12
.str.12:
	.asciz	"truthEndIdx - truthStartIdx == dUtils::TruthWordNum(nVars)"
	.size	.str.12, 59

	.type	__PRETTY_FUNCTION__._Z15factorFromTruthPKiS0_PyPiS2_S2_PKjS4_S0_S4_i,@object ; @__PRETTY_FUNCTION__._Z15factorFromTruthPKiS0_PyPiS2_S2_PKjS4_S0_S4_i
__PRETTY_FUNCTION__._Z15factorFromTruthPKiS0_PyPiS2_S2_PKjS4_S0_S4_i:
	.asciz	"void factorFromTruth(const int *, const int *, uint64 *, int *, int *, int *, const unsigned int *, const unsigned int *, const int *, const unsigned int *, int)"
	.size	__PRETTY_FUNCTION__._Z15factorFromTruthPKiS0_PyPiS2_S2_PKjS4_S0_S4_i, 162

	.type	.str.13,@object                 ; @.str.13
.str.13:
	.asciz	"vSubgLens[currRowIdx] > 0"
	.size	.str.13, 26

	.type	.str.14,@object                 ; @.str.14
.str.14:
	.asciz	"currRowIdx < 4 * nResyn - 1"
	.size	.str.14, 28

	.type	.str.15,@object                 ; @.str.15
.str.15:
	.asciz	"truthUtil::truthEqual(puTruth, pResult, nVars)"
	.size	.str.15, 47

	.type	.str.16,@object                 ; @.str.16
.str.16:
	.asciz	"/root/src/amdgpu-assembly/repos/zjin-lcf__HeCBench/src/logic-rewrite-hip/minato_isop.cuh"
	.size	.str.16, 89

	.type	__PRETTY_FUNCTION__._ZN3sop10minatoIsopEPKjiP7VecsMemIjLi8192EE,@object ; @__PRETTY_FUNCTION__._ZN3sop10minatoIsopEPKjiP7VecsMemIjLi8192EE
__PRETTY_FUNCTION__._ZN3sop10minatoIsopEPKjiP7VecsMemIjLi8192EE:
	.asciz	"void sop::minatoIsop(const unsigned int *, int, VecsMem<unsigned int, ISOP_FACTOR_MEM_CAP> *)"
	.size	__PRETTY_FUNCTION__._ZN3sop10minatoIsopEPKjiP7VecsMemIjLi8192EE, 94

	.type	.str.17,@object                 ; @.str.17
.str.17:
	.asciz	"pTemp != NULL"
	.size	.str.17, 14

	.type	.str.18,@object                 ; @.str.18
.str.18:
	.asciz	"nSize >= nSizeNew"
	.size	.str.18, 18

	.type	.str.19,@object                 ; @.str.19
.str.19:
	.asciz	"/root/src/amdgpu-assembly/repos/zjin-lcf__HeCBench/src/logic-rewrite-hip/vectors.cuh"
	.size	.str.19, 85

	.type	__PRETTY_FUNCTION__._ZN7VecsMemIjLi8192EE6shrinkEi,@object ; @__PRETTY_FUNCTION__._ZN7VecsMemIjLi8192EE6shrinkEi
__PRETTY_FUNCTION__._ZN7VecsMemIjLi8192EE6shrinkEi:
	.asciz	"void VecsMem<unsigned int, 8192>::shrink(int) [T = unsigned int, nCap = 8192]"
	.size	__PRETTY_FUNCTION__._ZN7VecsMemIjLi8192EE6shrinkEi, 78

	.type	__PRETTY_FUNCTION__._ZN3sop13minatoIsopRecEPKjS1_iPNS_3SopEP7VecsMemIjLi8192EE,@object ; @__PRETTY_FUNCTION__._ZN3sop13minatoIsopRecEPKjS1_iPNS_3SopEP7VecsMemIjLi8192EE
__PRETTY_FUNCTION__._ZN3sop13minatoIsopRecEPKjS1_iPNS_3SopEP7VecsMemIjLi8192EE:
	.asciz	"unsigned int *sop::minatoIsopRec(const unsigned int *, const unsigned int *, int, Sop *, VecsMem<unsigned int, ISOP_FACTOR_MEM_CAP> *)"
	.size	__PRETTY_FUNCTION__._ZN3sop13minatoIsopRecEPKjS1_iPNS_3SopEP7VecsMemIjLi8192EE, 135

	.type	.str.20,@object                 ; @.str.20
.str.20:
	.asciz	"pcRes->pCubes != NULL"
	.size	.str.20, 22

	.type	.str.21,@object                 ; @.str.21
.str.21:
	.asciz	"Var >= 0"
	.size	.str.21, 9

	.type	.str.23,@object                 ; @.str.23
.str.23:
	.asciz	"k == pcRes->nCubes"
	.size	.str.23, 19

	.type	.str.24,@object                 ; @.str.24
.str.24:
	.asciz	"iVar < nVars"
	.size	.str.24, 13

	.type	.str.25,@object                 ; @.str.25
.str.25:
	.asciz	"/root/src/amdgpu-assembly/repos/zjin-lcf__HeCBench/src/logic-rewrite-hip/truth_utils.cuh"
	.size	.str.25, 89

	.type	__PRETTY_FUNCTION__._ZN9truthUtil12varInSupportEPKjii,@object ; @__PRETTY_FUNCTION__._ZN9truthUtil12varInSupportEPKjii
__PRETTY_FUNCTION__._ZN9truthUtil12varInSupportEPKjii:
	.asciz	"int truthUtil::varInSupport(const unsigned int *, int, int)"
	.size	__PRETTY_FUNCTION__._ZN9truthUtil12varInSupportEPKjii, 60

	.type	__const._ZN3sop14minatoIsop5RecEjjiPNS_3SopEP7VecsMemIjLi8192EE.uMasks,@object ; @__const._ZN3sop14minatoIsop5RecEjjiPNS_3SopEP7VecsMemIjLi8192EE.uMasks
	.section	.rodata,"a",@progbits
	.p2align	4, 0x0
__const._ZN3sop14minatoIsop5RecEjjiPNS_3SopEP7VecsMemIjLi8192EE.uMasks:
	.long	2863311530                      ; 0xaaaaaaaa
	.long	3435973836                      ; 0xcccccccc
	;; [unrolled: 1-line block ×5, first 2 shown]
	.size	__const._ZN3sop14minatoIsop5RecEjjiPNS_3SopEP7VecsMemIjLi8192EE.uMasks, 20

	.type	__PRETTY_FUNCTION__._ZN3sop14minatoIsop5RecEjjiPNS_3SopEP7VecsMemIjLi8192EE,@object ; @__PRETTY_FUNCTION__._ZN3sop14minatoIsop5RecEjjiPNS_3SopEP7VecsMemIjLi8192EE
	.section	.rodata.str1.1,"aMS",@progbits,1
__PRETTY_FUNCTION__._ZN3sop14minatoIsop5RecEjjiPNS_3SopEP7VecsMemIjLi8192EE:
	.asciz	"unsigned int sop::minatoIsop5Rec(unsigned int, unsigned int, int, Sop *, VecsMem<unsigned int, ISOP_FACTOR_MEM_CAP> *)"
	.size	__PRETTY_FUNCTION__._ZN3sop14minatoIsop5RecEjjiPNS_3SopEP7VecsMemIjLi8192EE, 119

	.type	.str.27,@object                 ; @.str.27
.str.27:
	.asciz	"(uOn & ~uOnDc) == 0"
	.size	.str.27, 20

	.type	.str.28,@object                 ; @.str.28
.str.28:
	.asciz	"try to decrease K in refactor !!!\n"
	.size	.str.28, 35

	.type	.str.29,@object                 ; @.str.29
.str.29:
	.asciz	"0"
	.size	.str.29, 2

	.type	__PRETTY_FUNCTION__._ZN7VecsMemIjLi8192EE5fetchEi,@object ; @__PRETTY_FUNCTION__._ZN7VecsMemIjLi8192EE5fetchEi
__PRETTY_FUNCTION__._ZN7VecsMemIjLi8192EE5fetchEi:
	.asciz	"T *VecsMem<unsigned int, 8192>::fetch(int) [T = unsigned int, nCap = 8192]"
	.size	__PRETTY_FUNCTION__._ZN7VecsMemIjLi8192EE5fetchEi, 75

	.type	.str.30,@object                 ; @.str.30
.str.30:
	.asciz	"nVars < 16"
	.size	.str.30, 11

	.type	.str.31,@object                 ; @.str.31
.str.31:
	.asciz	"/root/src/amdgpu-assembly/repos/zjin-lcf__HeCBench/src/logic-rewrite-hip/alg_factor.cuh"
	.size	.str.31, 88

	.type	__PRETTY_FUNCTION__._ZN3sop9sopFactorEPjiiPKiiP7VecsMemIjLi8192EEPN8subgUtil4SubgILi256EEE,@object ; @__PRETTY_FUNCTION__._ZN3sop9sopFactorEPjiiPKiiP7VecsMemIjLi8192EEPN8subgUtil4SubgILi256EEE
__PRETTY_FUNCTION__._ZN3sop9sopFactorEPjiiPKiiP7VecsMemIjLi8192EEPN8subgUtil4SubgILi256EEE:
	.asciz	"void sop::sopFactor(unsigned int *, int, int, const int *, int, VecsMem<unsigned int, ISOP_FACTOR_MEM_CAP> *, subgUtil::Subg<SUBG_CAP> *)"
	.size	__PRETTY_FUNCTION__._ZN3sop9sopFactorEPjiiPKiiP7VecsMemIjLi8192EEPN8subgUtil4SubgILi256EEE, 138

	.type	.str.32,@object                 ; @.str.32
.str.32:
	.asciz	"subg->nSize == nVars"
	.size	.str.32, 21

	.type	.str.33,@object                 ; @.str.33
.str.33:
	.asciz	"cSop->nCubes > 0"
	.size	.str.33, 17

	.type	__PRETTY_FUNCTION__._ZN3sop12sopFactorRecEPNS_3SopEiP7VecsMemIjLi8192EEPN8subgUtil4SubgILi256EEE,@object ; @__PRETTY_FUNCTION__._ZN3sop12sopFactorRecEPNS_3SopEiP7VecsMemIjLi8192EEPN8subgUtil4SubgILi256EEE
__PRETTY_FUNCTION__._ZN3sop12sopFactorRecEPNS_3SopEiP7VecsMemIjLi8192EEPN8subgUtil4SubgILi256EEE:
	.asciz	"int sop::sopFactorRec(Sop *, int, VecsMem<unsigned int, ISOP_FACTOR_MEM_CAP> *, subgUtil::Subg<SUBG_CAP> *)"
	.size	__PRETTY_FUNCTION__._ZN3sop12sopFactorRecEPNS_3SopEiP7VecsMemIjLi8192EEPN8subgUtil4SubgILi256EEE, 108

	.type	.str.34,@object                 ; @.str.34
.str.34:
	.asciz	"cQuo->nCubes > 0"
	.size	.str.34, 17

	.type	.str.35,@object                 ; @.str.35
.str.35:
	.asciz	"cResult->nCubes > 0"
	.size	.str.35, 20

	.type	__PRETTY_FUNCTION__._ZN3sop10sopDivisorEPNS_3SopES1_iP7VecsMemIjLi8192EE,@object ; @__PRETTY_FUNCTION__._ZN3sop10sopDivisorEPNS_3SopES1_iP7VecsMemIjLi8192EE
__PRETTY_FUNCTION__._ZN3sop10sopDivisorEPNS_3SopES1_iP7VecsMemIjLi8192EE:
	.asciz	"int sop::sopDivisor(Sop *, Sop *, int, VecsMem<unsigned int, ISOP_FACTOR_MEM_CAP> *)"
	.size	__PRETTY_FUNCTION__._ZN3sop10sopDivisorEPNS_3SopES1_iP7VecsMemIjLi8192EE, 85

	.type	.str.36,@object                 ; @.str.36
.str.36:
	.asciz	"uCube"
	.size	.str.36, 6

	.type	__PRETTY_FUNCTION__._ZN3sop23sopFactorTrivialCubeRecEjiiPN8subgUtil4SubgILi256EEE,@object ; @__PRETTY_FUNCTION__._ZN3sop23sopFactorTrivialCubeRecEjiiPN8subgUtil4SubgILi256EEE
__PRETTY_FUNCTION__._ZN3sop23sopFactorTrivialCubeRecEjiiPN8subgUtil4SubgILi256EEE:
	.asciz	"int sop::sopFactorTrivialCubeRec(unsigned int, int, int, subgUtil::Subg<SUBG_CAP> *)"
	.size	__PRETTY_FUNCTION__._ZN3sop23sopFactorTrivialCubeRecEjiiPN8subgUtil4SubgILi256EEE, 85

	.type	.str.37,@object                 ; @.str.37
.str.37:
	.asciz	"iLit != -1"
	.size	.str.37, 11

	.type	.str.38,@object                 ; @.str.38
.str.38:
	.asciz	"cSop->nCubes >= cDiv->nCubes"
	.size	.str.38, 29

	.type	__PRETTY_FUNCTION__._ZN3sop17sopDivideInternalEPNS_3SopES1_S1_S1_P7VecsMemIjLi8192EE,@object ; @__PRETTY_FUNCTION__._ZN3sop17sopDivideInternalEPNS_3SopES1_S1_S1_P7VecsMemIjLi8192EE
__PRETTY_FUNCTION__._ZN3sop17sopDivideInternalEPNS_3SopES1_S1_S1_P7VecsMemIjLi8192EE:
	.asciz	"void sop::sopDivideInternal(Sop *, Sop *, Sop *, Sop *, VecsMem<unsigned int, ISOP_FACTOR_MEM_CAP> *)"
	.size	__PRETTY_FUNCTION__._ZN3sop17sopDivideInternalEPNS_3SopES1_S1_S1_P7VecsMemIjLi8192EE, 102

	.type	.str.39,@object                 ; @.str.39
.str.39:
	.asciz	"i2 < cSop->nCubes"
	.size	.str.39, 18

	.type	.str.40,@object                 ; @.str.40
.str.40:
	.asciz	"nCubesRem == vRem->nCubes"
	.size	.str.40, 26

	.type	.str.43,@object                 ; @.str.43
.str.43:
	.asciz	"nSize < nCap"
	.size	.str.43, 13

	.type	.str.44,@object                 ; @.str.44
.str.44:
	.asciz	"/root/src/amdgpu-assembly/repos/zjin-lcf__HeCBench/src/logic-rewrite-hip/sop.cuh"
	.size	.str.44, 81

	.type	__PRETTY_FUNCTION__._ZN8subgUtil4SubgILi256EE10addNodeAndEii,@object ; @__PRETTY_FUNCTION__._ZN8subgUtil4SubgILi256EE10addNodeAndEii
__PRETTY_FUNCTION__._ZN8subgUtil4SubgILi256EE10addNodeAndEii:
	.asciz	"int subgUtil::Subg<256>::addNodeAnd(int, int) [nCap = 256]"
	.size	__PRETTY_FUNCTION__._ZN8subgUtil4SubgILi256EE10addNodeAndEii, 59

	.type	__PRETTY_FUNCTION__._ZN8subgUtil4SubgILi256EE9addNodeOrEii,@object ; @__PRETTY_FUNCTION__._ZN8subgUtil4SubgILi256EE9addNodeOrEii
__PRETTY_FUNCTION__._ZN8subgUtil4SubgILi256EE9addNodeOrEii:
	.asciz	"int subgUtil::Subg<256>::addNodeOr(int, int) [nCap = 256]"
	.size	__PRETTY_FUNCTION__._ZN8subgUtil4SubgILi256EE9addNodeOrEii, 58

	.type	.str.45,@object                 ; @.str.45
.str.45:
	.asciz	"%d %d\n"
	.size	.str.45, 7

	.type	__PRETTY_FUNCTION__._ZN3sop18sopCommonCubeCoverEPNS_3SopES1_P7VecsMemIjLi8192EE,@object ; @__PRETTY_FUNCTION__._ZN3sop18sopCommonCubeCoverEPNS_3SopES1_P7VecsMemIjLi8192EE
__PRETTY_FUNCTION__._ZN3sop18sopCommonCubeCoverEPNS_3SopES1_P7VecsMemIjLi8192EE:
	.asciz	"void sop::sopCommonCubeCover(Sop *, Sop *, VecsMem<unsigned int, ISOP_FACTOR_MEM_CAP> *)"
	.size	__PRETTY_FUNCTION__._ZN3sop18sopCommonCubeCoverEPNS_3SopES1_P7VecsMemIjLi8192EE, 89

	.type	.str.46,@object                 ; @.str.46
.str.46:
	.asciz	"lit1 >= 0 && lit2 >= 0 && (fComp == 0 || fComp == 1) && lit1 <= lit2"
	.size	.str.46, 69

	.type	__PRETTY_FUNCTION__._ZN8subgUtil18formAndNodeKeyFlagEiii,@object ; @__PRETTY_FUNCTION__._ZN8subgUtil18formAndNodeKeyFlagEiii
__PRETTY_FUNCTION__._ZN8subgUtil18formAndNodeKeyFlagEiii:
	.asciz	"uint64 subgUtil::formAndNodeKeyFlag(const int, const int, const int)"
	.size	__PRETTY_FUNCTION__._ZN8subgUtil18formAndNodeKeyFlagEiii, 69

	.type	__hip_cuid_7deb20eca350e8b1,@object ; @__hip_cuid_7deb20eca350e8b1
	.section	.bss,"aw",@nobits
	.globl	__hip_cuid_7deb20eca350e8b1
__hip_cuid_7deb20eca350e8b1:
	.byte	0                               ; 0x0
	.size	__hip_cuid_7deb20eca350e8b1, 1

	.ident	"AMD clang version 19.0.0git (https://github.com/RadeonOpenCompute/llvm-project roc-6.4.0 25133 c7fe45cf4b819c5991fe208aaa96edf142730f1d)"
	.section	".note.GNU-stack","",@progbits
	.addrsig
	.addrsig_sym __hip_cuid_7deb20eca350e8b1
	.amdgpu_metadata
---
amdhsa.kernels:
  - .args:
      - .address_space:  global
        .offset:         0
        .size:           8
        .value_kind:     global_buffer
      - .address_space:  global
        .offset:         8
        .size:           8
        .value_kind:     global_buffer
      - .address_space:  global
        .offset:         16
        .size:           8
        .value_kind:     global_buffer
      - .address_space:  global
        .offset:         24
        .size:           8
        .value_kind:     global_buffer
      - .address_space:  global
        .offset:         32
        .size:           8
        .value_kind:     global_buffer
      - .address_space:  global
        .offset:         40
        .size:           8
        .value_kind:     global_buffer
      - .offset:         48
        .size:           4
        .value_kind:     by_value
      - .address_space:  global
        .offset:         56
        .size:           8
        .value_kind:     global_buffer
      - .address_space:  global
        .offset:         64
        .size:           8
        .value_kind:     global_buffer
      - .address_space:  global
        .offset:         72
        .size:           8
        .value_kind:     global_buffer
      - .address_space:  global
        .offset:         80
        .size:           8
        .value_kind:     global_buffer
      - .address_space:  global
        .offset:         88
        .size:           8
        .value_kind:     global_buffer
      - .address_space:  global
        .offset:         96
        .size:           8
        .value_kind:     global_buffer
      - .address_space:  global
        .offset:         104
        .size:           8
        .value_kind:     global_buffer
      - .address_space:  global
        .offset:         112
        .size:           8
        .value_kind:     global_buffer
      - .offset:         120
        .size:           4
        .value_kind:     by_value
      - .offset:         124
        .size:           4
        .value_kind:     by_value
      - .offset:         128
        .size:           4
        .value_kind:     hidden_block_count_x
      - .offset:         132
        .size:           4
        .value_kind:     hidden_block_count_y
      - .offset:         136
        .size:           4
        .value_kind:     hidden_block_count_z
      - .offset:         140
        .size:           2
        .value_kind:     hidden_group_size_x
      - .offset:         142
        .size:           2
        .value_kind:     hidden_group_size_y
      - .offset:         144
        .size:           2
        .value_kind:     hidden_group_size_z
      - .offset:         146
        .size:           2
        .value_kind:     hidden_remainder_x
      - .offset:         148
        .size:           2
        .value_kind:     hidden_remainder_y
      - .offset:         150
        .size:           2
        .value_kind:     hidden_remainder_z
      - .offset:         168
        .size:           8
        .value_kind:     hidden_global_offset_x
      - .offset:         176
        .size:           8
        .value_kind:     hidden_global_offset_y
      - .offset:         184
        .size:           8
        .value_kind:     hidden_global_offset_z
      - .offset:         192
        .size:           2
        .value_kind:     hidden_grid_dims
      - .offset:         208
        .size:           8
        .value_kind:     hidden_hostcall_buffer
    .group_segment_fixed_size: 65536
    .kernarg_segment_align: 8
    .kernarg_segment_size: 384
    .language:       OpenCL C
    .language_version:
      - 2
      - 0
    .max_flat_workgroup_size: 1024
    .name:           _Z8resynCutPKiS0_S0_S0_PKyPKjiS0_PyPiS6_S6_PjS0_S4_ii
    .private_segment_fixed_size: 41344
    .sgpr_count:     107
    .sgpr_spill_count: 384
    .symbol:         _Z8resynCutPKiS0_S0_S0_PKyPKjiS0_PyPiS6_S6_PjS0_S4_ii.kd
    .uniform_work_group_size: 1
    .uses_dynamic_stack: true
    .vgpr_count:     124
    .vgpr_spill_count: 0
    .wavefront_size: 32
    .workgroup_processor_mode: 1
  - .args:
      - .address_space:  global
        .offset:         0
        .size:           8
        .value_kind:     global_buffer
      - .address_space:  global
        .offset:         8
        .size:           8
        .value_kind:     global_buffer
      - .address_space:  global
        .offset:         16
        .size:           8
        .value_kind:     global_buffer
      - .address_space:  global
        .offset:         24
        .size:           8
        .value_kind:     global_buffer
      - .address_space:  global
        .offset:         32
        .size:           8
        .value_kind:     global_buffer
      - .address_space:  global
        .offset:         40
        .size:           8
        .value_kind:     global_buffer
      - .address_space:  global
        .offset:         48
        .size:           8
        .value_kind:     global_buffer
      - .address_space:  global
        .offset:         56
        .size:           8
        .value_kind:     global_buffer
      - .address_space:  global
        .offset:         64
        .size:           8
        .value_kind:     global_buffer
      - .address_space:  global
        .offset:         72
        .size:           8
        .value_kind:     global_buffer
      - .offset:         80
        .size:           4
        .value_kind:     by_value
      - .offset:         88
        .size:           4
        .value_kind:     hidden_block_count_x
      - .offset:         92
        .size:           4
        .value_kind:     hidden_block_count_y
      - .offset:         96
        .size:           4
        .value_kind:     hidden_block_count_z
      - .offset:         100
        .size:           2
        .value_kind:     hidden_group_size_x
      - .offset:         102
        .size:           2
        .value_kind:     hidden_group_size_y
      - .offset:         104
        .size:           2
        .value_kind:     hidden_group_size_z
      - .offset:         106
        .size:           2
        .value_kind:     hidden_remainder_x
      - .offset:         108
        .size:           2
        .value_kind:     hidden_remainder_y
      - .offset:         110
        .size:           2
        .value_kind:     hidden_remainder_z
      - .offset:         128
        .size:           8
        .value_kind:     hidden_global_offset_x
      - .offset:         136
        .size:           8
        .value_kind:     hidden_global_offset_y
      - .offset:         144
        .size:           8
        .value_kind:     hidden_global_offset_z
      - .offset:         152
        .size:           2
        .value_kind:     hidden_grid_dims
      - .offset:         168
        .size:           8
        .value_kind:     hidden_hostcall_buffer
    .group_segment_fixed_size: 32768
    .kernarg_segment_align: 8
    .kernarg_segment_size: 344
    .language:       OpenCL C
    .language_version:
      - 2
      - 0
    .max_flat_workgroup_size: 1024
    .name:           _Z15factorFromTruthPKiS0_PyPiS2_S2_PKjS4_S0_S4_i
    .private_segment_fixed_size: 35184
    .sgpr_count:     90
    .sgpr_spill_count: 0
    .symbol:         _Z15factorFromTruthPKiS0_PyPiS2_S2_PKjS4_S0_S4_i.kd
    .uniform_work_group_size: 1
    .uses_dynamic_stack: true
    .vgpr_count:     90
    .vgpr_spill_count: 0
    .wavefront_size: 32
    .workgroup_processor_mode: 1
amdhsa.target:   amdgcn-amd-amdhsa--gfx1100
amdhsa.version:
  - 1
  - 2
...

	.end_amdgpu_metadata
